;; amdgpu-corpus repo=ROCm/rocFFT kind=compiled arch=gfx950 opt=O3
	.text
	.amdgcn_target "amdgcn-amd-amdhsa--gfx950"
	.amdhsa_code_object_version 6
	.protected	fft_rtc_fwd_len320_factors_10_4_4_2_wgs_64_tpt_16_halfLds_dp_op_CI_CI_unitstride_sbrr_dirReg ; -- Begin function fft_rtc_fwd_len320_factors_10_4_4_2_wgs_64_tpt_16_halfLds_dp_op_CI_CI_unitstride_sbrr_dirReg
	.globl	fft_rtc_fwd_len320_factors_10_4_4_2_wgs_64_tpt_16_halfLds_dp_op_CI_CI_unitstride_sbrr_dirReg
	.p2align	8
	.type	fft_rtc_fwd_len320_factors_10_4_4_2_wgs_64_tpt_16_halfLds_dp_op_CI_CI_unitstride_sbrr_dirReg,@function
fft_rtc_fwd_len320_factors_10_4_4_2_wgs_64_tpt_16_halfLds_dp_op_CI_CI_unitstride_sbrr_dirReg: ; @fft_rtc_fwd_len320_factors_10_4_4_2_wgs_64_tpt_16_halfLds_dp_op_CI_CI_unitstride_sbrr_dirReg
; %bb.0:
	s_load_dwordx4 s[4:7], s[0:1], 0x58
	s_load_dwordx4 s[8:11], s[0:1], 0x0
	;; [unrolled: 1-line block ×3, first 2 shown]
	v_lshrrev_b32_e32 v89, 4, v0
	v_lshl_or_b32 v6, s2, 2, v89
	v_mov_b32_e32 v4, 0
	s_waitcnt lgkmcnt(0)
	v_cmp_lt_u64_e64 s[2:3], s[10:11], 2
	v_mov_b32_e32 v7, v4
	s_and_b64 vcc, exec, s[2:3]
	v_mov_b64_e32 v[2:3], 0
	s_cbranch_vccnz .LBB0_8
; %bb.1:
	s_load_dwordx2 s[2:3], s[0:1], 0x10
	s_add_u32 s16, s14, 8
	s_addc_u32 s17, s15, 0
	s_add_u32 s18, s12, 8
	s_addc_u32 s19, s13, 0
	s_waitcnt lgkmcnt(0)
	s_add_u32 s20, s2, 8
	v_mov_b64_e32 v[2:3], 0
	s_addc_u32 s21, s3, 0
	s_mov_b64 s[22:23], 1
	v_mov_b64_e32 v[86:87], v[2:3]
.LBB0_2:                                ; =>This Inner Loop Header: Depth=1
	s_load_dwordx2 s[24:25], s[20:21], 0x0
                                        ; implicit-def: $vgpr90_vgpr91
	s_waitcnt lgkmcnt(0)
	v_or_b32_e32 v5, s25, v7
	v_cmp_ne_u64_e32 vcc, 0, v[4:5]
	s_and_saveexec_b64 s[2:3], vcc
	s_xor_b64 s[26:27], exec, s[2:3]
	s_cbranch_execz .LBB0_4
; %bb.3:                                ;   in Loop: Header=BB0_2 Depth=1
	v_cvt_f32_u32_e32 v1, s24
	v_cvt_f32_u32_e32 v5, s25
	s_sub_u32 s2, 0, s24
	s_subb_u32 s3, 0, s25
	v_fmac_f32_e32 v1, 0x4f800000, v5
	v_rcp_f32_e32 v1, v1
	s_nop 0
	v_mul_f32_e32 v1, 0x5f7ffffc, v1
	v_mul_f32_e32 v5, 0x2f800000, v1
	v_trunc_f32_e32 v5, v5
	v_fmac_f32_e32 v1, 0xcf800000, v5
	v_cvt_u32_f32_e32 v5, v5
	v_cvt_u32_f32_e32 v1, v1
	v_mul_lo_u32 v8, s2, v5
	v_mul_hi_u32 v10, s2, v1
	v_mul_lo_u32 v9, s3, v1
	v_add_u32_e32 v10, v10, v8
	v_mul_lo_u32 v12, s2, v1
	v_add_u32_e32 v13, v10, v9
	v_mul_hi_u32 v8, v1, v12
	v_mul_hi_u32 v11, v1, v13
	v_mul_lo_u32 v10, v1, v13
	v_mov_b32_e32 v9, v4
	v_lshl_add_u64 v[8:9], v[8:9], 0, v[10:11]
	v_mul_hi_u32 v11, v5, v12
	v_mul_lo_u32 v12, v5, v12
	v_add_co_u32_e32 v8, vcc, v8, v12
	v_mul_hi_u32 v10, v5, v13
	s_nop 0
	v_addc_co_u32_e32 v8, vcc, v9, v11, vcc
	v_mov_b32_e32 v9, v4
	s_nop 0
	v_addc_co_u32_e32 v11, vcc, 0, v10, vcc
	v_mul_lo_u32 v10, v5, v13
	v_lshl_add_u64 v[8:9], v[8:9], 0, v[10:11]
	v_add_co_u32_e32 v1, vcc, v1, v8
	v_mul_lo_u32 v10, s2, v1
	s_nop 0
	v_addc_co_u32_e32 v5, vcc, v5, v9, vcc
	v_mul_lo_u32 v8, s2, v5
	v_mul_hi_u32 v9, s2, v1
	v_add_u32_e32 v8, v9, v8
	v_mul_lo_u32 v9, s3, v1
	v_add_u32_e32 v12, v8, v9
	v_mul_hi_u32 v14, v5, v10
	v_mul_lo_u32 v15, v5, v10
	v_mul_hi_u32 v9, v1, v12
	v_mul_lo_u32 v8, v1, v12
	v_mul_hi_u32 v10, v1, v10
	v_mov_b32_e32 v11, v4
	v_lshl_add_u64 v[8:9], v[10:11], 0, v[8:9]
	v_add_co_u32_e32 v8, vcc, v8, v15
	v_mul_hi_u32 v13, v5, v12
	s_nop 0
	v_addc_co_u32_e32 v8, vcc, v9, v14, vcc
	v_mul_lo_u32 v10, v5, v12
	s_nop 0
	v_addc_co_u32_e32 v11, vcc, 0, v13, vcc
	v_mov_b32_e32 v9, v4
	v_lshl_add_u64 v[8:9], v[8:9], 0, v[10:11]
	v_add_co_u32_e32 v1, vcc, v1, v8
	v_mul_hi_u32 v10, v6, v1
	s_nop 0
	v_addc_co_u32_e32 v5, vcc, v5, v9, vcc
	v_mad_u64_u32 v[8:9], s[2:3], v6, v5, 0
	v_mov_b32_e32 v11, v4
	v_lshl_add_u64 v[8:9], v[10:11], 0, v[8:9]
	v_mad_u64_u32 v[12:13], s[2:3], v7, v1, 0
	v_add_co_u32_e32 v1, vcc, v8, v12
	v_mad_u64_u32 v[10:11], s[2:3], v7, v5, 0
	s_nop 0
	v_addc_co_u32_e32 v8, vcc, v9, v13, vcc
	v_mov_b32_e32 v9, v4
	s_nop 0
	v_addc_co_u32_e32 v11, vcc, 0, v11, vcc
	v_lshl_add_u64 v[8:9], v[8:9], 0, v[10:11]
	v_mul_lo_u32 v1, s25, v8
	v_mul_lo_u32 v5, s24, v9
	v_mad_u64_u32 v[10:11], s[2:3], s24, v8, 0
	v_add3_u32 v1, v11, v5, v1
	v_sub_u32_e32 v5, v7, v1
	v_mov_b32_e32 v11, s25
	v_sub_co_u32_e32 v14, vcc, v6, v10
	v_lshl_add_u64 v[12:13], v[8:9], 0, 1
	s_nop 0
	v_subb_co_u32_e64 v5, s[2:3], v5, v11, vcc
	v_subrev_co_u32_e64 v10, s[2:3], s24, v14
	v_subb_co_u32_e32 v1, vcc, v7, v1, vcc
	s_nop 0
	v_subbrev_co_u32_e64 v5, s[2:3], 0, v5, s[2:3]
	v_cmp_le_u32_e64 s[2:3], s25, v5
	v_cmp_le_u32_e32 vcc, s25, v1
	s_nop 0
	v_cndmask_b32_e64 v11, 0, -1, s[2:3]
	v_cmp_le_u32_e64 s[2:3], s24, v10
	s_nop 1
	v_cndmask_b32_e64 v10, 0, -1, s[2:3]
	v_cmp_eq_u32_e64 s[2:3], s25, v5
	s_nop 1
	v_cndmask_b32_e64 v5, v11, v10, s[2:3]
	v_lshl_add_u64 v[10:11], v[8:9], 0, 2
	v_cmp_ne_u32_e64 s[2:3], 0, v5
	s_nop 1
	v_cndmask_b32_e64 v5, v13, v11, s[2:3]
	v_cndmask_b32_e64 v11, 0, -1, vcc
	v_cmp_le_u32_e32 vcc, s24, v14
	s_nop 1
	v_cndmask_b32_e64 v13, 0, -1, vcc
	v_cmp_eq_u32_e32 vcc, s25, v1
	s_nop 1
	v_cndmask_b32_e32 v1, v11, v13, vcc
	v_cmp_ne_u32_e32 vcc, 0, v1
	v_cndmask_b32_e64 v1, v12, v10, s[2:3]
	s_nop 0
	v_cndmask_b32_e32 v91, v9, v5, vcc
	v_cndmask_b32_e32 v90, v8, v1, vcc
.LBB0_4:                                ;   in Loop: Header=BB0_2 Depth=1
	s_andn2_saveexec_b64 s[2:3], s[26:27]
	s_cbranch_execz .LBB0_6
; %bb.5:                                ;   in Loop: Header=BB0_2 Depth=1
	v_cvt_f32_u32_e32 v1, s24
	s_sub_i32 s26, 0, s24
	v_mov_b32_e32 v91, v4
	v_rcp_iflag_f32_e32 v1, v1
	s_nop 0
	v_mul_f32_e32 v1, 0x4f7ffffe, v1
	v_cvt_u32_f32_e32 v1, v1
	v_mul_lo_u32 v5, s26, v1
	v_mul_hi_u32 v5, v1, v5
	v_add_u32_e32 v1, v1, v5
	v_mul_hi_u32 v1, v6, v1
	v_mul_lo_u32 v5, v1, s24
	v_sub_u32_e32 v5, v6, v5
	v_add_u32_e32 v8, 1, v1
	v_subrev_u32_e32 v9, s24, v5
	v_cmp_le_u32_e32 vcc, s24, v5
	s_nop 1
	v_cndmask_b32_e32 v5, v5, v9, vcc
	v_cndmask_b32_e32 v1, v1, v8, vcc
	v_add_u32_e32 v8, 1, v1
	v_cmp_le_u32_e32 vcc, s24, v5
	s_nop 1
	v_cndmask_b32_e32 v90, v1, v8, vcc
.LBB0_6:                                ;   in Loop: Header=BB0_2 Depth=1
	s_or_b64 exec, exec, s[2:3]
	v_mad_u64_u32 v[8:9], s[2:3], v90, s24, 0
	s_load_dwordx2 s[2:3], s[18:19], 0x0
	v_mul_lo_u32 v1, v91, s24
	v_mul_lo_u32 v5, v90, s25
	s_load_dwordx2 s[24:25], s[16:17], 0x0
	s_add_u32 s22, s22, 1
	v_add3_u32 v1, v9, v5, v1
	v_sub_co_u32_e32 v5, vcc, v6, v8
	s_addc_u32 s23, s23, 0
	s_nop 0
	v_subb_co_u32_e32 v1, vcc, v7, v1, vcc
	s_add_u32 s16, s16, 8
	s_waitcnt lgkmcnt(0)
	v_mul_lo_u32 v6, s2, v1
	v_mul_lo_u32 v7, s3, v5
	v_mad_u64_u32 v[2:3], s[2:3], s2, v5, v[2:3]
	s_addc_u32 s17, s17, 0
	v_add3_u32 v3, v7, v3, v6
	v_mul_lo_u32 v1, s24, v1
	v_mul_lo_u32 v6, s25, v5
	v_mad_u64_u32 v[86:87], s[2:3], s24, v5, v[86:87]
	s_add_u32 s18, s18, 8
	v_add3_u32 v87, v6, v87, v1
	s_addc_u32 s19, s19, 0
	v_mov_b64_e32 v[6:7], s[10:11]
	s_add_u32 s20, s20, 8
	v_cmp_ge_u64_e32 vcc, s[22:23], v[6:7]
	s_addc_u32 s21, s21, 0
	s_cbranch_vccnz .LBB0_9
; %bb.7:                                ;   in Loop: Header=BB0_2 Depth=1
	v_mov_b64_e32 v[6:7], v[90:91]
	s_branch .LBB0_2
.LBB0_8:
	v_mov_b64_e32 v[86:87], v[2:3]
	v_mov_b64_e32 v[90:91], v[6:7]
.LBB0_9:
	s_load_dwordx2 s[0:1], s[0:1], 0x28
	s_lshl_b64 s[10:11], s[10:11], 3
	s_add_u32 s2, s14, s10
	s_addc_u32 s3, s15, s11
	v_and_b32_e32 v88, 15, v0
	s_waitcnt lgkmcnt(0)
	v_cmp_gt_u64_e32 vcc, s[0:1], v[90:91]
	v_cmp_le_u64_e64 s[0:1], s[0:1], v[90:91]
                                        ; implicit-def: $vgpr92
                                        ; implicit-def: $vgpr100
                                        ; implicit-def: $vgpr102
                                        ; implicit-def: $vgpr94
                                        ; implicit-def: $vgpr104
                                        ; implicit-def: $vgpr96
                                        ; implicit-def: $vgpr106
                                        ; implicit-def: $vgpr98
                                        ; implicit-def: $vgpr108
	s_and_saveexec_b64 s[14:15], s[0:1]
	s_xor_b64 s[0:1], exec, s[14:15]
; %bb.10:
	v_and_b32_e32 v88, 15, v0
	v_or_b32_e32 v92, 16, v88
	v_or_b32_e32 v100, 0x50, v88
	v_or_b32_e32 v102, 0x60, v88
	v_or_b32_e32 v94, 32, v88
	v_or_b32_e32 v104, 0x70, v88
	v_or_b32_e32 v96, 48, v88
	v_or_b32_e32 v106, 0x80, v88
	v_or_b32_e32 v98, 64, v88
	v_or_b32_e32 v108, 0x90, v88
                                        ; implicit-def: $vgpr2_vgpr3
                                        ; implicit-def: $vgpr0
; %bb.11:
	s_or_saveexec_b64 s[0:1], s[0:1]
                                        ; implicit-def: $vgpr48_vgpr49
                                        ; implicit-def: $vgpr64_vgpr65
                                        ; implicit-def: $vgpr68_vgpr69
                                        ; implicit-def: $vgpr76_vgpr77
                                        ; implicit-def: $vgpr52_vgpr53
                                        ; implicit-def: $vgpr4_vgpr5
                                        ; implicit-def: $vgpr40_vgpr41
                                        ; implicit-def: $vgpr16_vgpr17
                                        ; implicit-def: $vgpr20_vgpr21
                                        ; implicit-def: $vgpr36_vgpr37
                                        ; implicit-def: $vgpr28_vgpr29
                                        ; implicit-def: $vgpr32_vgpr33
                                        ; implicit-def: $vgpr24_vgpr25
                                        ; implicit-def: $vgpr12_vgpr13
                                        ; implicit-def: $vgpr8_vgpr9
                                        ; implicit-def: $vgpr60_vgpr61
                                        ; implicit-def: $vgpr72_vgpr73
                                        ; implicit-def: $vgpr80_vgpr81
                                        ; implicit-def: $vgpr56_vgpr57
                                        ; implicit-def: $vgpr44_vgpr45
	s_xor_b64 exec, exec, s[0:1]
	s_cbranch_execz .LBB0_13
; %bb.12:
	s_add_u32 s10, s12, s10
	s_addc_u32 s11, s13, s11
	s_load_dwordx2 s[10:11], s[10:11], 0x0
	v_lshlrev_b32_e32 v18, 4, v88
	v_mov_b32_e32 v19, 0
	v_or_b32_e32 v94, 32, v88
	v_or_b32_e32 v98, 64, v88
	s_waitcnt lgkmcnt(0)
	v_mul_lo_u32 v1, s11, v90
	v_mul_lo_u32 v6, s10, v91
	v_mad_u64_u32 v[4:5], s[10:11], s10, v90, 0
	v_add3_u32 v5, v5, v6, v1
	v_lshl_add_u64 v[4:5], v[4:5], 4, s[4:5]
	v_lshl_add_u64 v[20:21], v[2:3], 4, v[4:5]
	v_or_b32_e32 v2, 0x1000, v18
	v_mov_b32_e32 v3, v19
	v_lshl_add_u64 v[14:15], v[20:21], 0, v[2:3]
	v_or_b32_e32 v2, 0x1200, v18
	v_lshl_add_u64 v[82:83], v[20:21], 0, v[18:19]
	v_lshl_add_u64 v[16:17], v[20:21], 0, v[2:3]
	global_load_dwordx4 v[58:61], v[14:15], off
	global_load_dwordx4 v[50:53], v[16:17], off
	;; [unrolled: 1-line block ×3, first 2 shown]
	global_load_dwordx4 v[2:5], v[82:83], off offset:256
	global_load_dwordx4 v[46:49], v[82:83], off offset:512
	;; [unrolled: 1-line block ×7, first 2 shown]
	v_or_b32_e32 v18, 0x1100, v18
	v_mov_b32_e32 v1, 0x1300
	v_lshl_add_u64 v[84:85], v[20:21], 0, v[18:19]
	v_lshl_or_b32 v18, v0, 4, v1
	global_load_dwordx4 v[78:81], v[82:83], off offset:2048
	global_load_dwordx4 v[14:17], v[82:83], off offset:2304
	v_lshl_add_u64 v[0:1], v[20:21], 0, v[18:19]
	global_load_dwordx4 v[66:69], v[82:83], off offset:2560
	global_load_dwordx4 v[22:25], v[82:83], off offset:2816
	;; [unrolled: 1-line block ×6, first 2 shown]
	global_load_dwordx4 v[34:37], v[84:85], off
	global_load_dwordx4 v[26:29], v[0:1], off
	v_or_b32_e32 v102, 0x60, v88
	v_or_b32_e32 v106, 0x80, v88
	;; [unrolled: 1-line block ×7, first 2 shown]
.LBB0_13:
	s_or_b64 exec, exec, s[0:1]
	s_waitcnt vmcnt(13)
	v_add_f64 v[0:1], v[62:63], v[42:43]
	v_add_f64 v[82:83], v[64:65], v[44:45]
	s_waitcnt vmcnt(9)
	v_add_f64 v[0:1], v[78:79], v[0:1]
	v_add_f64 v[82:83], v[80:81], v[82:83]
	;; [unrolled: 3-line block ×3, first 2 shown]
	v_add_f64 v[84:85], v[74:75], v[78:79]
	v_add_f64 v[112:113], v[62:63], -v[78:79]
	v_add_f64 v[114:115], v[78:79], -v[62:63]
	;; [unrolled: 1-line block ×3, first 2 shown]
	v_add_f64 v[122:123], v[62:63], v[58:59]
	v_add_f64 v[62:63], v[62:63], -v[58:59]
	v_add_f64 v[124:125], v[58:59], -v[74:75]
	;; [unrolled: 1-line block ×3, first 2 shown]
	v_add_f64 v[58:59], v[58:59], v[0:1]
	v_add_f64 v[0:1], v[60:61], v[82:83]
	;; [unrolled: 1-line block ×3, first 2 shown]
	v_add_f64 v[110:111], v[80:81], -v[76:77]
	v_add_f64 v[116:117], v[76:77], v[80:81]
	v_add_f64 v[118:119], v[64:65], -v[80:81]
	v_add_f64 v[80:81], v[80:81], -v[64:65]
	;; [unrolled: 1-line block ×3, first 2 shown]
	v_add_f64 v[64:65], v[64:65], v[60:61]
	v_add_f64 v[126:127], v[60:61], -v[76:77]
	v_add_f64 v[76:77], v[76:77], -v[60:61]
	v_add_f64 v[60:61], v[46:47], v[54:55]
	v_add_f64 v[82:83], v[68:69], v[82:83]
	;; [unrolled: 1-line block ×3, first 2 shown]
	s_waitcnt vmcnt(3)
	v_add_f64 v[128:129], v[66:67], v[70:71]
	v_add_f64 v[142:143], v[50:51], v[54:55]
	;; [unrolled: 1-line block ×3, first 2 shown]
	s_mov_b32 s14, 0x134454ff
	v_add_f64 v[130:131], v[68:69], -v[72:73]
	v_add_f64 v[132:133], v[54:55], -v[66:67]
	;; [unrolled: 1-line block ×3, first 2 shown]
	v_add_f64 v[136:137], v[68:69], v[72:73]
	v_add_f64 v[66:67], v[66:67], -v[70:71]
	v_add_f64 v[138:139], v[56:57], -v[68:69]
	;; [unrolled: 1-line block ×4, first 2 shown]
	v_add_f64 v[56:57], v[52:53], v[56:57]
	v_add_f64 v[60:61], v[70:71], v[60:61]
	v_add_f64 v[144:145], v[50:51], -v[70:71]
	v_add_f64 v[70:71], v[70:71], -v[50:51]
	;; [unrolled: 1-line block ×4, first 2 shown]
	v_add_f64 v[148:149], v[52:53], v[82:83]
	v_fma_f64 v[52:53], -0.5, v[128:129], v[46:47]
	v_fmac_f64_e32 v[46:47], -0.5, v[142:143]
	s_mov_b32 s15, 0x3fee6f0e
	s_mov_b32 s12, 0x4755a5e
	;; [unrolled: 1-line block ×4, first 2 shown]
	v_add_f64 v[54:55], v[54:55], -v[50:51]
	v_add_f64 v[50:51], v[50:51], v[60:61]
	v_add_f64 v[60:61], v[70:71], v[134:135]
	v_fma_f64 v[70:71], -0.5, v[136:137], v[48:49]
	v_fmac_f64_e32 v[48:49], -0.5, v[56:57]
	v_add_f64 v[56:57], v[72:73], v[68:69]
	s_mov_b32 s13, 0x3fe2cf23
	s_mov_b32 s0, 0x372fe950
	;; [unrolled: 1-line block ×4, first 2 shown]
	v_fma_f64 v[68:69], s[10:11], v[130:131], v[46:47]
	v_fmac_f64_e32 v[46:47], s[14:15], v[130:131]
	s_mov_b32 s1, 0x3fd3c6ef
	v_fmac_f64_e32 v[46:47], s[4:5], v[140:141]
	v_fma_f64 v[72:73], s[14:15], v[66:67], v[48:49]
	v_fmac_f64_e32 v[48:49], s[10:11], v[66:67]
	v_fmac_f64_e32 v[46:47], s[0:1], v[60:61]
	;; [unrolled: 1-line block ×4, first 2 shown]
	v_mul_f64 v[82:83], v[46:47], s[0:1]
	v_fma_f64 v[128:129], v[48:49], s[14:15], -v[82:83]
	v_mul_f64 v[48:49], v[48:49], s[0:1]
	v_fma_f64 v[46:47], v[46:47], s[10:11], -v[48:49]
	v_add_f64 v[48:49], v[124:125], v[112:113]
	v_fma_f64 v[112:113], -0.5, v[84:85], v[42:43]
	v_fma_f64 v[82:83], s[14:15], v[120:121], v[112:113]
	v_fmac_f64_e32 v[112:113], s[10:11], v[120:121]
	v_fmac_f64_e32 v[42:43], -0.5, v[122:123]
	v_fmac_f64_e32 v[82:83], s[12:13], v[110:111]
	v_fmac_f64_e32 v[112:113], s[4:5], v[110:111]
	v_fma_f64 v[84:85], s[10:11], v[110:111], v[42:43]
	v_fmac_f64_e32 v[42:43], s[14:15], v[110:111]
	v_fma_f64 v[110:111], -0.5, v[116:117], v[44:45]
	v_fmac_f64_e32 v[82:83], s[0:1], v[48:49]
	v_fmac_f64_e32 v[112:113], s[0:1], v[48:49]
	v_add_f64 v[48:49], v[74:75], v[114:115]
	v_fmac_f64_e32 v[84:85], s[12:13], v[120:121]
	v_fmac_f64_e32 v[42:43], s[4:5], v[120:121]
	v_fma_f64 v[114:115], s[10:11], v[62:63], v[110:111]
	v_fmac_f64_e32 v[110:111], s[14:15], v[62:63]
	v_fmac_f64_e32 v[44:45], -0.5, v[64:65]
	v_fmac_f64_e32 v[84:85], s[0:1], v[48:49]
	v_fmac_f64_e32 v[42:43], s[0:1], v[48:49]
	v_add_f64 v[48:49], v[126:127], v[118:119]
	v_fmac_f64_e32 v[114:115], s[4:5], v[78:79]
	v_fmac_f64_e32 v[110:111], s[12:13], v[78:79]
	v_fma_f64 v[116:117], s[14:15], v[78:79], v[44:45]
	v_fmac_f64_e32 v[44:45], s[10:11], v[78:79]
	v_fmac_f64_e32 v[114:115], s[0:1], v[48:49]
	;; [unrolled: 1-line block ×3, first 2 shown]
	v_add_f64 v[48:49], v[76:77], v[80:81]
	v_fmac_f64_e32 v[116:117], s[4:5], v[62:63]
	v_fmac_f64_e32 v[44:45], s[12:13], v[62:63]
	v_fma_f64 v[62:63], s[14:15], v[140:141], v[52:53]
	v_fmac_f64_e32 v[52:53], s[10:11], v[140:141]
	v_fmac_f64_e32 v[68:69], s[12:13], v[140:141]
	v_fmac_f64_e32 v[116:117], s[0:1], v[48:49]
	v_fmac_f64_e32 v[44:45], s[0:1], v[48:49]
	v_add_f64 v[48:49], v[144:145], v[132:133]
	v_fmac_f64_e32 v[62:63], s[12:13], v[130:131]
	v_fmac_f64_e32 v[52:53], s[4:5], v[130:131]
	;; [unrolled: 1-line block ×3, first 2 shown]
	v_fma_f64 v[60:61], s[10:11], v[54:55], v[70:71]
	v_fmac_f64_e32 v[62:63], s[0:1], v[48:49]
	v_fmac_f64_e32 v[52:53], s[0:1], v[48:49]
	v_add_f64 v[48:49], v[146:147], v[138:139]
	v_fmac_f64_e32 v[60:61], s[4:5], v[66:67]
	v_fmac_f64_e32 v[70:71], s[14:15], v[54:55]
	s_mov_b32 s16, 0x9b97f4a8
	v_fmac_f64_e32 v[70:71], s[12:13], v[66:67]
	v_fmac_f64_e32 v[60:61], s[0:1], v[48:49]
	;; [unrolled: 1-line block ×3, first 2 shown]
	s_mov_b32 s17, 0x3fe9e377
	v_mul_f64 v[66:67], v[62:63], s[4:5]
	v_fmac_f64_e32 v[70:71], s[0:1], v[48:49]
	v_fmac_f64_e32 v[72:73], s[0:1], v[56:57]
	v_mul_f64 v[48:49], v[60:61], s[12:13]
	v_fmac_f64_e32 v[66:67], s[16:17], v[60:61]
	v_mul_f64 v[60:61], v[68:69], s[0:1]
	v_mul_f64 v[68:69], v[68:69], s[10:11]
	;; [unrolled: 1-line block ×3, first 2 shown]
	v_fmac_f64_e32 v[48:49], s[16:17], v[62:63]
	v_fmac_f64_e32 v[60:61], s[14:15], v[72:73]
	;; [unrolled: 1-line block ×3, first 2 shown]
	v_fma_f64 v[62:63], v[70:71], s[12:13], -v[54:55]
	v_mul_f64 v[54:55], v[70:71], s[16:17]
	v_fma_f64 v[118:119], v[52:53], s[4:5], -v[54:55]
	v_add_f64 v[74:75], v[50:51], v[58:59]
	v_add_f64 v[76:77], v[82:83], v[48:49]
	v_add_f64 v[54:55], v[82:83], -v[48:49]
	v_add_f64 v[56:57], v[84:85], -v[60:61]
	v_add_f64 v[82:83], v[84:85], v[60:61]
	v_add_f64 v[80:81], v[58:59], -v[50:51]
	v_add_f64 v[50:51], v[116:117], v[68:69]
	v_add_f64 v[60:61], v[116:117], -v[68:69]
	v_add_f64 v[70:71], v[148:149], v[0:1]
	v_add_f64 v[68:69], v[0:1], -v[148:149]
	v_mul_u32_u24_e32 v0, 0x140, v89
	v_lshlrev_b32_e32 v95, 3, v0
	v_mul_u32_u24_e32 v0, 10, v88
	v_add_u32_e32 v93, 0, v95
	v_add_f64 v[84:85], v[42:43], v[128:129]
	v_add_f64 v[78:79], v[112:113], v[62:63]
	v_add_f64 v[64:65], v[112:113], -v[62:63]
	v_add_f64 v[62:63], v[42:43], -v[128:129]
	v_lshl_add_u32 v97, v0, 3, v93
	v_add_f64 v[0:1], v[10:11], -v[14:15]
	s_waitcnt vmcnt(1)
	v_add_f64 v[42:43], v[34:35], -v[30:31]
	v_add_f64 v[52:53], v[44:45], v[46:47]
	v_add_f64 v[46:47], v[44:45], -v[46:47]
	v_add_f64 v[0:1], v[42:43], v[0:1]
	v_add_f64 v[42:43], v[38:39], -v[22:23]
	s_waitcnt vmcnt(0)
	v_add_f64 v[44:45], v[26:27], -v[18:19]
	ds_write_b128 v97, v[74:77]
	ds_write_b128 v97, v[82:85] offset:16
	ds_write_b128 v97, v[78:81] offset:32
	;; [unrolled: 1-line block ×3, first 2 shown]
	v_add_f64 v[54:55], v[44:45], v[42:43]
	v_add_f64 v[42:43], v[40:41], -v[24:25]
	v_add_f64 v[44:45], v[28:29], -v[20:21]
	v_add_f64 v[56:57], v[44:45], v[42:43]
	v_add_f64 v[42:43], v[2:3], v[10:11]
	;; [unrolled: 1-line block ×4, first 2 shown]
	ds_write_b128 v97, v[62:65] offset:64
	v_add_f64 v[62:63], v[34:35], v[42:43]
	v_add_f64 v[42:43], v[14:15], v[30:31]
	v_fma_f64 v[64:65], -0.5, v[42:43], v[2:3]
	v_add_f64 v[42:43], v[38:39], v[6:7]
	v_add_f64 v[42:43], v[22:23], v[42:43]
	;; [unrolled: 1-line block ×5, first 2 shown]
	v_fma_f64 v[122:123], -0.5, v[42:43], v[6:7]
	v_add_f64 v[82:83], v[40:41], -v[28:29]
	v_add_f64 v[42:43], v[20:21], v[24:25]
	v_add_f64 v[58:59], v[114:115], -v[66:67]
	v_add_f64 v[72:73], v[114:115], v[66:67]
	v_add_f64 v[66:67], v[110:111], v[118:119]
	v_add_f64 v[48:49], v[110:111], -v[118:119]
	v_fma_f64 v[124:125], s[14:15], v[82:83], v[122:123]
	v_add_f64 v[84:85], v[24:25], -v[20:21]
	v_fma_f64 v[126:127], -0.5, v[42:43], v[8:9]
	v_add_f64 v[110:111], v[38:39], -v[26:27]
	v_add_f64 v[74:75], v[12:13], -v[36:37]
	v_fmac_f64_e32 v[124:125], s[12:13], v[84:85]
	v_fma_f64 v[128:129], s[10:11], v[110:111], v[126:127]
	v_add_f64 v[112:113], v[22:23], -v[18:19]
	v_fma_f64 v[76:77], s[14:15], v[74:75], v[64:65]
	v_add_f64 v[78:79], v[16:17], -v[32:33]
	v_fmac_f64_e32 v[124:125], s[0:1], v[54:55]
	v_fmac_f64_e32 v[128:129], s[4:5], v[112:113]
	v_fmac_f64_e32 v[76:77], s[12:13], v[78:79]
	v_fmac_f64_e32 v[128:129], s[0:1], v[56:57]
	v_mul_f64 v[114:115], v[124:125], s[16:17]
	v_fmac_f64_e32 v[76:77], s[0:1], v[0:1]
	v_fmac_f64_e32 v[114:115], s[12:13], v[128:129]
	v_mul_i32_i24_e32 v89, 10, v92
	v_add_f64 v[42:43], v[62:63], v[80:81]
	v_add_f64 v[44:45], v[76:77], v[114:115]
	v_lshl_add_u32 v99, v89, 3, v93
	ds_write_b128 v99, v[42:45]
	v_add_f64 v[42:43], v[34:35], v[10:11]
	v_fmac_f64_e32 v[2:3], -0.5, v[42:43]
	v_add_f64 v[42:43], v[14:15], -v[10:11]
	v_add_f64 v[44:45], v[30:31], -v[34:35]
	v_add_f64 v[42:43], v[44:45], v[42:43]
	v_fma_f64 v[44:45], s[10:11], v[78:79], v[2:3]
	v_fmac_f64_e32 v[2:3], s[14:15], v[78:79]
	v_fmac_f64_e32 v[44:45], s[12:13], v[74:75]
	;; [unrolled: 1-line block ×5, first 2 shown]
	v_add_f64 v[42:43], v[38:39], v[26:27]
	v_fmac_f64_e32 v[6:7], -0.5, v[42:43]
	v_add_f64 v[22:23], v[22:23], -v[38:39]
	v_add_f64 v[18:19], v[18:19], -v[26:27]
	v_fma_f64 v[130:131], s[10:11], v[84:85], v[6:7]
	v_fmac_f64_e32 v[6:7], s[14:15], v[84:85]
	v_add_f64 v[18:19], v[18:19], v[22:23]
	v_fmac_f64_e32 v[130:131], s[12:13], v[82:83]
	v_fmac_f64_e32 v[6:7], s[4:5], v[82:83]
	;; [unrolled: 1-line block ×4, first 2 shown]
	v_add_f64 v[18:19], v[40:41], v[28:29]
	v_add_f64 v[132:133], v[40:41], v[8:9]
	v_fmac_f64_e32 v[8:9], -0.5, v[18:19]
	v_add_f64 v[18:19], v[24:25], -v[40:41]
	v_add_f64 v[22:23], v[20:21], -v[28:29]
	v_fma_f64 v[134:135], s[14:15], v[112:113], v[8:9]
	v_fmac_f64_e32 v[8:9], s[10:11], v[112:113]
	v_add_f64 v[18:19], v[22:23], v[18:19]
	v_fmac_f64_e32 v[134:135], s[4:5], v[110:111]
	v_fmac_f64_e32 v[8:9], s[12:13], v[110:111]
	;; [unrolled: 1-line block ×4, first 2 shown]
	v_mul_f64 v[18:19], v[130:131], s[0:1]
	v_fmac_f64_e32 v[122:123], s[10:11], v[82:83]
	v_fmac_f64_e32 v[18:19], s[14:15], v[134:135]
	;; [unrolled: 1-line block ×5, first 2 shown]
	v_add_f64 v[40:41], v[44:45], -v[18:19]
	v_add_f64 v[42:43], v[44:45], v[18:19]
	v_mul_f64 v[18:19], v[6:7], s[0:1]
	v_fmac_f64_e32 v[64:65], s[4:5], v[78:79]
	v_fmac_f64_e32 v[122:123], s[0:1], v[54:55]
	;; [unrolled: 1-line block ×3, first 2 shown]
	v_fma_f64 v[18:19], v[8:9], s[14:15], -v[18:19]
	v_fmac_f64_e32 v[64:65], s[0:1], v[0:1]
	v_fmac_f64_e32 v[126:127], s[0:1], v[56:57]
	v_mul_f64 v[0:1], v[122:123], s[16:17]
	v_add_f64 v[44:45], v[2:3], v[18:19]
	v_fma_f64 v[0:1], v[126:127], s[12:13], -v[0:1]
	ds_write_b128 v99, v[42:45] offset:16
	v_add_f64 v[44:45], v[62:63], -v[80:81]
	v_add_f64 v[42:43], v[64:65], v[0:1]
	v_add_f64 v[38:39], v[76:77], -v[114:115]
	ds_write_b128 v99, v[42:45] offset:32
	ds_write_b128 v99, v[38:41] offset:48
	v_add_f64 v[40:41], v[64:65], -v[0:1]
	v_lshlrev_b32_e32 v0, 3, v88
	v_add_f64 v[38:39], v[2:3], -v[18:19]
	v_add_u32_e32 v113, v93, v0
	v_add3_u32 v112, 0, v0, v95
	s_movk_i32 s18, 0xffb8
	ds_write_b128 v99, v[38:41] offset:64
	s_load_dwordx2 s[2:3], s[2:3], 0x0
	s_waitcnt lgkmcnt(0)
	; wave barrier
	s_waitcnt lgkmcnt(0)
	v_lshl_add_u32 v114, v100, 3, v93
	v_lshl_add_u32 v115, v102, 3, v93
	;; [unrolled: 1-line block ×8, first 2 shown]
	v_mad_i32_i24 v116, v92, s18, v99
	v_add_u32_e32 v93, 0x800, v112
	ds_read_b64 v[76:77], v113
	ds_read_b64 v[110:111], v114
	;; [unrolled: 1-line block ×10, first 2 shown]
	ds_read2_b64 v[62:65], v112 offset0:160 offset1:176
	ds_read2_b64 v[38:41], v112 offset0:224 offset1:240
	ds_read2_b64 v[54:57], v93 offset1:16
	ds_read2_b64 v[42:45], v112 offset0:192 offset1:208
	ds_read2_b64 v[0:3], v93 offset0:32 offset1:48
	s_waitcnt lgkmcnt(0)
	; wave barrier
	s_waitcnt lgkmcnt(0)
	ds_write_b128 v97, v[70:73]
	ds_write_b128 v97, v[50:53] offset:16
	ds_write_b128 v97, v[66:69] offset:32
	;; [unrolled: 1-line block ×4, first 2 shown]
	v_add_f64 v[46:47], v[4:5], v[12:13]
	v_add_f64 v[48:49], v[16:17], v[32:33]
	;; [unrolled: 1-line block ×4, first 2 shown]
	v_add_f64 v[14:15], v[14:15], -v[30:31]
	v_add_f64 v[30:31], v[12:13], -v[16:17]
	;; [unrolled: 1-line block ×4, first 2 shown]
	v_add_f64 v[12:13], v[36:37], v[12:13]
	v_add_f64 v[20:21], v[20:21], v[24:25]
	v_fma_f64 v[24:25], -0.5, v[48:49], v[4:5]
	v_add_f64 v[34:35], v[32:33], v[46:47]
	v_add_f64 v[46:47], v[36:37], -v[32:33]
	v_add_f64 v[20:21], v[28:29], v[20:21]
	v_mul_f64 v[8:9], v[8:9], s[0:1]
	v_fma_f64 v[28:29], s[10:11], v[10:11], v[24:25]
	v_fmac_f64_e32 v[24:25], s[14:15], v[10:11]
	v_fmac_f64_e32 v[4:5], -0.5, v[12:13]
	v_add_f64 v[32:33], v[32:33], -v[36:37]
	v_fma_f64 v[8:9], v[6:7], s[10:11], -v[8:9]
	v_add_f64 v[6:7], v[46:47], v[30:31]
	v_fmac_f64_e32 v[28:29], s[4:5], v[14:15]
	v_fmac_f64_e32 v[24:25], s[12:13], v[14:15]
	v_fma_f64 v[12:13], s[14:15], v[14:15], v[4:5]
	v_fmac_f64_e32 v[4:5], s[10:11], v[14:15]
	v_fmac_f64_e32 v[28:29], s[0:1], v[6:7]
	;; [unrolled: 1-line block ×3, first 2 shown]
	v_add_f64 v[6:7], v[32:33], v[16:17]
	v_fmac_f64_e32 v[12:13], s[4:5], v[10:11]
	v_fmac_f64_e32 v[4:5], s[12:13], v[10:11]
	v_mul_f64 v[10:11], v[124:125], s[4:5]
	v_mul_f64 v[14:15], v[130:131], s[10:11]
	v_add_f64 v[34:35], v[36:37], v[34:35]
	v_fmac_f64_e32 v[12:13], s[0:1], v[6:7]
	v_fmac_f64_e32 v[4:5], s[0:1], v[6:7]
	;; [unrolled: 1-line block ×4, first 2 shown]
	v_mul_f64 v[6:7], v[126:127], s[16:17]
	v_fma_f64 v[16:17], v[122:123], s[4:5], -v[6:7]
	v_add_f64 v[6:7], v[4:5], v[8:9]
	v_add_f64 v[8:9], v[4:5], -v[8:9]
	v_add_f64 v[4:5], v[12:13], v[14:15]
	v_add_f64 v[14:15], v[12:13], -v[14:15]
	v_add_f64 v[12:13], v[28:29], -v[10:11]
	v_add_f64 v[30:31], v[28:29], v[10:11]
	v_add_f64 v[28:29], v[34:35], v[20:21]
	v_add_f64 v[34:35], v[34:35], -v[20:21]
	v_add_f64 v[32:33], v[24:25], v[16:17]
	v_add_f64 v[10:11], v[24:25], -v[16:17]
	ds_write_b128 v99, v[28:31]
	ds_write_b128 v99, v[4:7] offset:16
	ds_write_b128 v99, v[32:35] offset:32
	;; [unrolled: 1-line block ×4, first 2 shown]
	v_add_u32_e32 v4, -10, v88
	v_cmp_gt_u32_e64 s[0:1], 10, v88
	v_mov_b32_e32 v31, 0
	s_waitcnt lgkmcnt(0)
	v_cndmask_b32_e64 v29, v4, v88, s[0:1]
	v_mul_i32_i24_e32 v30, 3, v29
	s_movk_i32 s0, 0xcd
	v_lshl_add_u64 v[16:17], v[30:31], 4, s[8:9]
	v_mul_lo_u16_sdwa v8, v92, s0 dst_sel:DWORD dst_unused:UNUSED_PAD src0_sel:BYTE_0 src1_sel:DWORD
	; wave barrier
	global_load_dwordx4 v[4:7], v[16:17], off offset:16
	v_lshrrev_b16_e32 v30, 11, v8
	v_mul_lo_u16_e32 v8, 10, v30
	v_sub_u16_e32 v97, v92, v8
	v_mov_b32_e32 v28, 3
	v_mul_u32_u24_sdwa v8, v97, v28 dst_sel:DWORD dst_unused:UNUSED_PAD src0_sel:BYTE_0 src1_sel:DWORD
	v_lshlrev_b32_e32 v20, 4, v8
	global_load_dwordx4 v[8:11], v20, s[8:9] offset:16
	global_load_dwordx4 v[12:15], v20, s[8:9] offset:32
	v_mul_lo_u16_sdwa v21, v94, s0 dst_sel:DWORD dst_unused:UNUSED_PAD src0_sel:BYTE_0 src1_sel:DWORD
	v_lshrrev_b16_e32 v99, 11, v21
	v_mul_lo_u16_e32 v21, 10, v99
	v_sub_u16_e32 v101, v94, v21
	v_mul_u32_u24_sdwa v21, v101, v28 dst_sel:DWORD dst_unused:UNUSED_PAD src0_sel:BYTE_0 src1_sel:DWORD
	v_lshlrev_b32_e32 v21, 4, v21
	global_load_dwordx4 v[32:35], v21, s[8:9] offset:32
	global_load_dwordx4 v[46:49], v21, s[8:9] offset:16
	v_mul_lo_u16_sdwa v24, v96, s0 dst_sel:DWORD dst_unused:UNUSED_PAD src0_sel:BYTE_0 src1_sel:DWORD
	v_lshrrev_b16_e32 v103, 11, v24
	v_mul_lo_u16_e32 v24, 10, v103
	v_sub_u16_e32 v105, v96, v24
	v_mul_u32_u24_sdwa v24, v105, v28 dst_sel:DWORD dst_unused:UNUSED_PAD src0_sel:BYTE_0 src1_sel:DWORD
	v_lshlrev_b32_e32 v24, 4, v24
	global_load_dwordx4 v[58:61], v24, s[8:9] offset:16
	global_load_dwordx4 v[66:69], v[16:17], off offset:32
	v_mul_lo_u16_sdwa v25, v98, s0 dst_sel:DWORD dst_unused:UNUSED_PAD src0_sel:BYTE_0 src1_sel:DWORD
	v_lshrrev_b16_e32 v107, 11, v25
	v_mul_lo_u16_e32 v25, 10, v107
	v_sub_u16_e32 v109, v98, v25
	v_mul_u32_u24_sdwa v25, v109, v28 dst_sel:DWORD dst_unused:UNUSED_PAD src0_sel:BYTE_0 src1_sel:DWORD
	v_lshlrev_b32_e32 v25, 4, v25
	global_load_dwordx4 v[70:73], v25, s[8:9] offset:16
	global_load_dwordx4 v[122:125], v24, s[8:9] offset:32
	;; [unrolled: 1-line block ×3, first 2 shown]
	global_load_dwordx4 v[130:133], v[16:17], off
                                        ; kill: killed $vgpr16_vgpr17
	global_load_dwordx4 v[134:137], v20, s[8:9]
	global_load_dwordx4 v[138:141], v21, s[8:9]
	;; [unrolled: 1-line block ×4, first 2 shown]
	ds_read2_b64 v[50:53], v112 offset0:160 offset1:176
	v_cmp_lt_u32_e64 s[0:1], 9, v88
	v_lshlrev_b32_e32 v29, 3, v29
	s_movk_i32 s4, 0x140
	s_waitcnt vmcnt(14) lgkmcnt(0)
	v_mul_f64 v[16:17], v[50:51], v[6:7]
	v_mul_f64 v[36:37], v[62:63], v[6:7]
	v_fma_f64 v[16:17], v[62:63], v[4:5], -v[16:17]
	v_fmac_f64_e32 v[36:37], v[50:51], v[4:5]
	ds_read2_b64 v[4:7], v93 offset1:16
	v_add_f64 v[16:17], v[76:77], -v[16:17]
	s_waitcnt vmcnt(13)
	v_mul_f64 v[20:21], v[52:53], v[10:11]
	v_fma_f64 v[62:63], v[64:65], v[8:9], -v[20:21]
	v_mul_f64 v[20:21], v[64:65], v[10:11]
	v_fmac_f64_e32 v[20:21], v[52:53], v[8:9]
	s_waitcnt vmcnt(12) lgkmcnt(0)
	v_mul_f64 v[8:9], v[4:5], v[14:15]
	v_fma_f64 v[64:65], v[54:55], v[12:13], -v[8:9]
	ds_read2_b64 v[8:11], v112 offset0:192 offset1:208
	v_mul_f64 v[14:15], v[54:55], v[14:15]
	v_fmac_f64_e32 v[14:15], v[4:5], v[12:13]
	s_waitcnt vmcnt(11)
	v_mul_f64 v[4:5], v[6:7], v[34:35]
	v_fma_f64 v[12:13], v[56:57], v[32:33], -v[4:5]
	v_mul_f64 v[34:35], v[56:57], v[34:35]
	s_waitcnt vmcnt(10) lgkmcnt(0)
	v_mul_f64 v[4:5], v[8:9], v[48:49]
	v_fmac_f64_e32 v[34:35], v[6:7], v[32:33]
	v_fma_f64 v[32:33], v[42:43], v[46:47], -v[4:5]
	ds_read2_b64 v[4:7], v112 offset0:224 offset1:240
	v_mul_f64 v[52:53], v[42:43], v[48:49]
	v_fmac_f64_e32 v[52:53], v[8:9], v[46:47]
	s_waitcnt vmcnt(9)
	v_mul_f64 v[8:9], v[10:11], v[60:61]
	v_fma_f64 v[42:43], v[44:45], v[58:59], -v[8:9]
	v_mul_f64 v[24:25], v[44:45], v[60:61]
	s_waitcnt vmcnt(8) lgkmcnt(0)
	v_mul_f64 v[8:9], v[6:7], v[68:69]
	v_fmac_f64_e32 v[24:25], v[10:11], v[58:59]
	v_fma_f64 v[10:11], v[40:41], v[66:67], -v[8:9]
	v_mul_f64 v[40:41], v[40:41], v[68:69]
	v_fmac_f64_e32 v[40:41], v[6:7], v[66:67]
	ds_read2_b64 v[6:9], v93 offset0:32 offset1:48
	s_waitcnt vmcnt(7)
	v_mul_f64 v[50:51], v[38:39], v[72:73]
	v_mul_f64 v[44:45], v[4:5], v[72:73]
	v_fmac_f64_e32 v[50:51], v[4:5], v[70:71]
	v_fma_f64 v[44:45], v[38:39], v[70:71], -v[44:45]
	s_waitcnt vmcnt(6) lgkmcnt(0)
	v_mul_f64 v[4:5], v[6:7], v[124:125]
	v_fma_f64 v[4:5], v[0:1], v[122:123], -v[4:5]
	v_mul_f64 v[0:1], v[0:1], v[124:125]
	v_fmac_f64_e32 v[0:1], v[6:7], v[122:123]
	s_waitcnt vmcnt(5)
	v_mul_f64 v[6:7], v[8:9], v[128:129]
	v_fma_f64 v[6:7], v[2:3], v[126:127], -v[6:7]
	v_mul_f64 v[2:3], v[2:3], v[128:129]
	ds_read_b64 v[38:39], v114
	v_fmac_f64_e32 v[2:3], v[8:9], v[126:127]
	ds_read_b64 v[8:9], v115
	ds_read_b64 v[54:55], v116
	;; [unrolled: 1-line block ×4, first 2 shown]
	s_waitcnt vmcnt(4)
	v_mul_f64 v[56:57], v[110:111], v[132:133]
	s_waitcnt vmcnt(3)
	v_mul_f64 v[58:59], v[84:85], v[136:137]
	s_waitcnt lgkmcnt(4)
	v_mul_f64 v[48:49], v[38:39], v[132:133]
	v_fmac_f64_e32 v[56:57], v[38:39], v[130:131]
	s_waitcnt vmcnt(2) lgkmcnt(0)
	v_mul_f64 v[70:71], v[60:61], v[140:141]
	v_mul_f64 v[38:39], v[8:9], v[136:137]
	v_fmac_f64_e32 v[58:59], v[8:9], v[134:135]
	ds_read_b64 v[8:9], v119
	ds_read_b64 v[66:67], v118
	;; [unrolled: 1-line block ×3, first 2 shown]
	v_fma_f64 v[70:71], v[82:83], v[138:139], -v[70:71]
	v_mul_f64 v[72:73], v[82:83], v[140:141]
	ds_read_b64 v[82:83], v121
	v_fmac_f64_e32 v[72:73], v[60:61], v[138:139]
	s_waitcnt vmcnt(1) lgkmcnt(3)
	v_mul_f64 v[60:61], v[8:9], v[144:145]
	v_fma_f64 v[60:61], v[80:81], v[142:143], -v[60:61]
	v_mul_f64 v[80:81], v[80:81], v[144:145]
	v_fma_f64 v[38:39], v[84:85], v[134:135], -v[38:39]
	ds_read_b64 v[84:85], v120
	v_fmac_f64_e32 v[80:81], v[8:9], v[142:143]
	s_waitcnt vmcnt(0) lgkmcnt(1)
	v_mul_f64 v[8:9], v[82:83], v[148:149]
	v_fma_f64 v[8:9], v[78:79], v[146:147], -v[8:9]
	v_mul_f64 v[78:79], v[78:79], v[148:149]
	v_fma_f64 v[48:49], v[110:111], v[130:131], -v[48:49]
	v_fmac_f64_e32 v[78:79], v[82:83], v[146:147]
	v_mov_b32_e32 v82, 0x140
	v_cndmask_b32_e64 v82, 0, v82, s[0:1]
	v_add_f64 v[10:11], v[48:49], -v[10:11]
	v_add_u32_e32 v82, 0, v82
	v_fma_f64 v[76:77], v[76:77], 2.0, -v[16:17]
	v_add_f64 v[40:41], v[56:57], -v[40:41]
	v_fma_f64 v[48:49], v[48:49], 2.0, -v[10:11]
	v_add3_u32 v124, v82, v29, v95
	v_add_f64 v[48:49], v[76:77], -v[48:49]
	v_add_f64 v[82:83], v[16:17], -v[40:41]
	v_fma_f64 v[76:77], v[76:77], 2.0, -v[48:49]
	v_fma_f64 v[16:17], v[16:17], 2.0, -v[82:83]
	s_waitcnt lgkmcnt(0)
	; wave barrier
	s_waitcnt lgkmcnt(0)
	ds_write2_b64 v124, v[76:77], v[16:17] offset1:10
	ds_write2_b64 v124, v[48:49], v[82:83] offset0:20 offset1:30
	v_mad_u32_u24 v16, v30, s4, 0
	v_lshlrev_b32_sdwa v17, v28, v97 dst_sel:DWORD dst_unused:UNUSED_PAD src0_sel:DWORD src1_sel:BYTE_0
	v_add3_u32 v30, v16, v17, v95
	v_add_f64 v[16:17], v[74:75], -v[62:63]
	v_add_f64 v[62:63], v[38:39], -v[64:65]
	v_fma_f64 v[48:49], v[74:75], 2.0, -v[16:17]
	v_add_f64 v[64:65], v[58:59], -v[14:15]
	v_fma_f64 v[14:15], v[38:39], 2.0, -v[62:63]
	;; [unrolled: 2-line block ×4, first 2 shown]
	ds_write2_b64 v30, v[38:39], v[16:17] offset1:10
	ds_write2_b64 v30, v[14:15], v[48:49] offset0:20 offset1:30
	v_mad_u32_u24 v14, v99, s4, 0
	v_lshlrev_b32_sdwa v15, v28, v101 dst_sel:DWORD dst_unused:UNUSED_PAD src0_sel:DWORD src1_sel:BYTE_0
	v_add3_u32 v97, v14, v15, v95
	v_add_f64 v[14:15], v[26:27], -v[32:33]
	v_fma_f64 v[16:17], v[26:27], 2.0, -v[14:15]
	v_add_f64 v[26:27], v[70:71], -v[12:13]
	v_add_f64 v[74:75], v[72:73], -v[34:35]
	v_fma_f64 v[12:13], v[70:71], 2.0, -v[26:27]
	v_add_f64 v[12:13], v[16:17], -v[12:13]
	v_add_f64 v[32:33], v[14:15], -v[74:75]
	v_fma_f64 v[16:17], v[16:17], 2.0, -v[12:13]
	v_fma_f64 v[14:15], v[14:15], 2.0, -v[32:33]
	ds_write2_b64 v97, v[16:17], v[14:15] offset1:10
	ds_write2_b64 v97, v[12:13], v[32:33] offset0:20 offset1:30
	v_mad_u32_u24 v12, v103, s4, 0
	v_lshlrev_b32_sdwa v13, v28, v105 dst_sel:DWORD dst_unused:UNUSED_PAD src0_sel:DWORD src1_sel:BYTE_0
	v_add3_u32 v99, v12, v13, v95
	v_add_f64 v[12:13], v[22:23], -v[42:43]
	v_fma_f64 v[14:15], v[22:23], 2.0, -v[12:13]
	v_add_f64 v[22:23], v[60:61], -v[4:5]
	v_add_f64 v[70:71], v[80:81], -v[0:1]
	v_fma_f64 v[0:1], v[60:61], 2.0, -v[22:23]
	v_add_f64 v[0:1], v[14:15], -v[0:1]
	v_fma_f64 v[4:5], v[14:15], 2.0, -v[0:1]
	v_add_f64 v[14:15], v[12:13], -v[70:71]
	v_fma_f64 v[12:13], v[12:13], 2.0, -v[14:15]
	ds_write2_b64 v99, v[4:5], v[12:13] offset1:10
	ds_write2_b64 v99, v[0:1], v[14:15] offset0:20 offset1:30
	v_lshlrev_b32_sdwa v0, v28, v109 dst_sel:DWORD dst_unused:UNUSED_PAD src0_sel:DWORD src1_sel:BYTE_0
	v_mad_u32_u24 v1, v107, s4, 0
	v_add3_u32 v101, v1, v0, v95
	v_add_f64 v[0:1], v[18:19], -v[44:45]
	v_add_f64 v[60:61], v[8:9], -v[6:7]
	v_fma_f64 v[4:5], v[18:19], 2.0, -v[0:1]
	v_add_f64 v[76:77], v[78:79], -v[2:3]
	v_fma_f64 v[2:3], v[8:9], 2.0, -v[60:61]
	v_add_f64 v[2:3], v[4:5], -v[2:3]
	v_add_f64 v[6:7], v[0:1], -v[76:77]
	v_fma_f64 v[4:5], v[4:5], 2.0, -v[2:3]
	v_fma_f64 v[0:1], v[0:1], 2.0, -v[6:7]
	ds_write2_b64 v101, v[4:5], v[0:1] offset1:10
	v_add_f64 v[4:5], v[46:47], -v[36:37]
	v_fma_f64 v[0:1], v[56:57], 2.0, -v[40:41]
	v_fma_f64 v[8:9], v[46:47], 2.0, -v[4:5]
	v_add_f64 v[56:57], v[8:9], -v[0:1]
	v_add_f64 v[110:111], v[4:5], v[10:11]
	v_fma_f64 v[82:83], v[8:9], 2.0, -v[56:57]
	v_fma_f64 v[122:123], v[4:5], 2.0, -v[110:111]
	v_add_f64 v[20:21], v[54:55], -v[20:21]
	ds_write2_b64 v101, v[2:3], v[6:7] offset0:20 offset1:30
	s_waitcnt lgkmcnt(0)
	; wave barrier
	s_waitcnt lgkmcnt(0)
	ds_read_b64 v[38:39], v113
	ds_read_b64 v[46:47], v114
	;; [unrolled: 1-line block ×10, first 2 shown]
	ds_read2_b64 v[16:19], v112 offset0:160 offset1:176
	ds_read2_b64 v[4:7], v112 offset0:224 offset1:240
	ds_read2_b64 v[12:15], v93 offset1:16
	ds_read2_b64 v[8:11], v112 offset0:192 offset1:208
	ds_read2_b64 v[0:3], v93 offset0:32 offset1:48
	s_waitcnt lgkmcnt(0)
	; wave barrier
	s_waitcnt lgkmcnt(0)
	ds_write2_b64 v124, v[82:83], v[122:123] offset1:10
	ds_write2_b64 v124, v[56:57], v[110:111] offset0:20 offset1:30
	v_fma_f64 v[56:57], v[58:59], 2.0, -v[64:65]
	v_fma_f64 v[54:55], v[54:55], 2.0, -v[20:21]
	v_add_f64 v[56:57], v[54:55], -v[56:57]
	v_add_f64 v[58:59], v[20:21], v[62:63]
	v_fma_f64 v[54:55], v[54:55], 2.0, -v[56:57]
	v_fma_f64 v[20:21], v[20:21], 2.0, -v[58:59]
	v_add_f64 v[52:53], v[68:69], -v[52:53]
	ds_write2_b64 v30, v[54:55], v[20:21] offset1:10
	ds_write2_b64 v30, v[56:57], v[58:59] offset0:20 offset1:30
	v_fma_f64 v[20:21], v[72:73], 2.0, -v[74:75]
	v_fma_f64 v[54:55], v[68:69], 2.0, -v[52:53]
	v_add_f64 v[20:21], v[54:55], -v[20:21]
	v_add_f64 v[26:27], v[52:53], v[26:27]
	v_fma_f64 v[54:55], v[54:55], 2.0, -v[20:21]
	v_fma_f64 v[52:53], v[52:53], 2.0, -v[26:27]
	v_add_f64 v[24:25], v[66:67], -v[24:25]
	ds_write2_b64 v97, v[54:55], v[52:53] offset1:10
	ds_write2_b64 v97, v[20:21], v[26:27] offset0:20 offset1:30
	v_fma_f64 v[20:21], v[80:81], 2.0, -v[70:71]
	v_fma_f64 v[26:27], v[66:67], 2.0, -v[24:25]
	v_add_f64 v[20:21], v[26:27], -v[20:21]
	v_add_f64 v[22:23], v[24:25], v[22:23]
	v_fma_f64 v[26:27], v[26:27], 2.0, -v[20:21]
	v_fma_f64 v[24:25], v[24:25], 2.0, -v[22:23]
	ds_write2_b64 v99, v[26:27], v[24:25] offset1:10
	v_add_f64 v[24:25], v[84:85], -v[50:51]
	v_fma_f64 v[26:27], v[84:85], 2.0, -v[24:25]
	v_fma_f64 v[50:51], v[78:79], 2.0, -v[76:77]
	v_add_f64 v[50:51], v[26:27], -v[50:51]
	v_add_f64 v[52:53], v[24:25], v[60:61]
	v_fma_f64 v[26:27], v[26:27], 2.0, -v[50:51]
	v_fma_f64 v[24:25], v[24:25], 2.0, -v[52:53]
	ds_write2_b64 v99, v[20:21], v[22:23] offset0:20 offset1:30
	ds_write2_b64 v101, v[26:27], v[24:25] offset1:10
	ds_write2_b64 v101, v[50:51], v[52:53] offset0:20 offset1:30
	v_mul_u32_u24_e32 v20, 3, v88
	v_lshlrev_b32_e32 v97, 4, v20
	s_waitcnt lgkmcnt(0)
	; wave barrier
	s_waitcnt lgkmcnt(0)
	global_load_dwordx4 v[20:23], v97, s[8:9] offset:496
	v_mul_i32_i24_e32 v30, 3, v92
	v_lshl_add_u64 v[110:111], v[30:31], 4, s[8:9]
	global_load_dwordx4 v[24:27], v[110:111], off offset:496
	global_load_dwordx4 v[50:53], v[110:111], off offset:512
	v_add_u32_e32 v30, -8, v88
	v_cmp_gt_u32_e64 s[0:1], 40, v94
	s_waitcnt vmcnt(2)
	v_mul_f64 v[146:147], v[16:17], v[22:23]
	v_cndmask_b32_e64 v99, v30, v94, s[0:1]
	v_mul_i32_i24_e32 v30, 3, v99
	v_lshl_add_u64 v[130:131], v[30:31], 4, s[8:9]
	global_load_dwordx4 v[54:57], v[130:131], off offset:512
	global_load_dwordx4 v[58:61], v[130:131], off offset:496
	global_load_dwordx4 v[62:65], v97, s[8:9] offset:880
	global_load_dwordx4 v[66:69], v97, s[8:9] offset:512
	global_load_dwordx4 v[70:73], v97, s[8:9] offset:1648
	global_load_dwordx4 v[74:77], v97, s[8:9] offset:896
	global_load_dwordx4 v[78:81], v97, s[8:9] offset:1664
	global_load_dwordx4 v[82:85], v97, s[8:9] offset:480
	global_load_dwordx4 v[122:125], v[110:111], off offset:480
	global_load_dwordx4 v[126:129], v[130:131], off offset:480
                                        ; kill: killed $vgpr130_vgpr131
                                        ; kill: killed $vgpr110_vgpr111
	s_nop 0
	global_load_dwordx4 v[130:133], v97, s[8:9] offset:864
	global_load_dwordx4 v[134:137], v97, s[8:9] offset:1632
	ds_read2_b64 v[138:141], v112 offset0:160 offset1:176
	ds_read2_b64 v[142:145], v93 offset1:16
	v_cmp_lt_u32_e64 s[0:1], 39, v94
	s_waitcnt lgkmcnt(1)
	v_mul_f64 v[110:111], v[138:139], v[22:23]
	v_fma_f64 v[110:111], v[16:17], v[20:21], -v[110:111]
	s_waitcnt vmcnt(13)
	v_mul_f64 v[16:17], v[140:141], v[26:27]
	v_fmac_f64_e32 v[146:147], v[138:139], v[20:21]
	v_fma_f64 v[138:139], v[18:19], v[24:25], -v[16:17]
	v_mul_f64 v[22:23], v[18:19], v[26:27]
	s_waitcnt vmcnt(12) lgkmcnt(0)
	v_mul_f64 v[16:17], v[142:143], v[52:53]
	v_fmac_f64_e32 v[22:23], v[140:141], v[24:25]
	v_fma_f64 v[140:141], v[12:13], v[50:51], -v[16:17]
	ds_read2_b64 v[16:19], v112 offset0:192 offset1:208
	v_mul_f64 v[52:53], v[12:13], v[52:53]
	v_fmac_f64_e32 v[52:53], v[142:143], v[50:51]
	s_waitcnt vmcnt(11)
	v_mul_f64 v[12:13], v[144:145], v[56:57]
	v_fma_f64 v[50:51], v[14:15], v[54:55], -v[12:13]
	v_mul_f64 v[56:57], v[14:15], v[56:57]
	s_waitcnt vmcnt(10) lgkmcnt(0)
	v_mul_f64 v[12:13], v[16:17], v[60:61]
	v_fmac_f64_e32 v[56:57], v[144:145], v[54:55]
	v_fma_f64 v[54:55], v[8:9], v[58:59], -v[12:13]
	ds_read2_b64 v[12:15], v112 offset0:224 offset1:240
	v_mul_f64 v[26:27], v[8:9], v[60:61]
	s_waitcnt vmcnt(9)
	v_mul_f64 v[8:9], v[18:19], v[64:65]
	v_fmac_f64_e32 v[26:27], v[16:17], v[58:59]
	v_fma_f64 v[16:17], v[10:11], v[62:63], -v[8:9]
	v_mul_f64 v[20:21], v[10:11], v[64:65]
	s_waitcnt vmcnt(8) lgkmcnt(0)
	v_mul_f64 v[8:9], v[14:15], v[68:69]
	v_fmac_f64_e32 v[20:21], v[18:19], v[62:63]
	v_fma_f64 v[10:11], v[6:7], v[66:67], -v[8:9]
	v_mul_f64 v[18:19], v[6:7], v[68:69]
	ds_read2_b64 v[6:9], v93 offset0:32 offset1:48
	v_fmac_f64_e32 v[18:19], v[14:15], v[66:67]
	s_waitcnt vmcnt(7)
	v_mul_f64 v[14:15], v[12:13], v[72:73]
	v_mul_f64 v[24:25], v[4:5], v[72:73]
	v_fma_f64 v[14:15], v[4:5], v[70:71], -v[14:15]
	v_fmac_f64_e32 v[24:25], v[12:13], v[70:71]
	s_waitcnt vmcnt(6) lgkmcnt(0)
	v_mul_f64 v[4:5], v[6:7], v[76:77]
	ds_read_b64 v[12:13], v114
	v_fma_f64 v[4:5], v[0:1], v[74:75], -v[4:5]
	v_mul_f64 v[0:1], v[0:1], v[76:77]
	v_fmac_f64_e32 v[0:1], v[6:7], v[74:75]
	s_waitcnt vmcnt(5)
	v_mul_f64 v[6:7], v[8:9], v[80:81]
	v_fma_f64 v[6:7], v[2:3], v[78:79], -v[6:7]
	v_mul_f64 v[2:3], v[2:3], v[80:81]
	v_fmac_f64_e32 v[2:3], v[8:9], v[78:79]
	ds_read_b64 v[8:9], v115
	ds_read_b64 v[58:59], v116
	;; [unrolled: 1-line block ×3, first 2 shown]
	s_waitcnt vmcnt(4) lgkmcnt(3)
	v_mul_f64 v[62:63], v[12:13], v[84:85]
	v_fma_f64 v[62:63], v[46:47], v[82:83], -v[62:63]
	v_mul_f64 v[46:47], v[46:47], v[84:85]
	v_fmac_f64_e32 v[46:47], v[12:13], v[82:83]
	s_waitcnt vmcnt(3) lgkmcnt(2)
	v_mul_f64 v[12:13], v[8:9], v[124:125]
	v_fma_f64 v[12:13], v[48:49], v[122:123], -v[12:13]
	v_mul_f64 v[64:65], v[48:49], v[124:125]
	ds_read_b64 v[48:49], v117
	s_waitcnt vmcnt(2)
	v_mul_f64 v[72:73], v[44:45], v[128:129]
	v_fmac_f64_e32 v[64:65], v[8:9], v[122:123]
	ds_read_b64 v[8:9], v119
	ds_read_b64 v[66:67], v118
	;; [unrolled: 1-line block ×3, first 2 shown]
	s_waitcnt vmcnt(1)
	v_mul_f64 v[74:75], v[42:43], v[132:133]
	s_waitcnt lgkmcnt(3)
	v_mul_f64 v[70:71], v[48:49], v[128:129]
	v_fmac_f64_e32 v[72:73], v[48:49], v[126:127]
	ds_read_b64 v[48:49], v121
	ds_read_b64 v[76:77], v120
	v_fma_f64 v[70:71], v[44:45], v[126:127], -v[70:71]
	s_waitcnt lgkmcnt(4)
	v_mul_f64 v[44:45], v[8:9], v[132:133]
	v_fmac_f64_e32 v[74:75], v[8:9], v[130:131]
	s_waitcnt vmcnt(0) lgkmcnt(1)
	v_mul_f64 v[8:9], v[48:49], v[136:137]
	v_fma_f64 v[8:9], v[40:41], v[134:135], -v[8:9]
	v_mul_f64 v[78:79], v[40:41], v[136:137]
	v_add_f64 v[40:41], v[38:39], -v[110:111]
	v_add_f64 v[10:11], v[62:63], -v[10:11]
	v_fma_f64 v[44:45], v[42:43], v[130:131], -v[44:45]
	v_fma_f64 v[38:39], v[38:39], 2.0, -v[40:41]
	v_add_f64 v[18:19], v[46:47], -v[18:19]
	v_fma_f64 v[42:43], v[62:63], 2.0, -v[10:11]
	v_fmac_f64_e32 v[78:79], v[48:49], v[134:135]
	v_add_f64 v[42:43], v[38:39], -v[42:43]
	v_add_f64 v[48:49], v[40:41], -v[18:19]
	v_fma_f64 v[38:39], v[38:39], 2.0, -v[42:43]
	v_fma_f64 v[40:41], v[40:41], 2.0, -v[48:49]
	s_waitcnt lgkmcnt(0)
	; wave barrier
	s_waitcnt lgkmcnt(0)
	ds_write2_b64 v112, v[38:39], v[40:41] offset1:40
	ds_write2_b64 v112, v[42:43], v[48:49] offset0:80 offset1:120
	v_add_f64 v[38:39], v[36:37], -v[138:139]
	v_add_f64 v[62:63], v[12:13], -v[140:141]
	v_fma_f64 v[36:37], v[36:37], 2.0, -v[38:39]
	v_add_f64 v[52:53], v[64:65], -v[52:53]
	v_fma_f64 v[12:13], v[12:13], 2.0, -v[62:63]
	v_add_f64 v[12:13], v[36:37], -v[12:13]
	v_add_f64 v[40:41], v[38:39], -v[52:53]
	v_fma_f64 v[36:37], v[36:37], 2.0, -v[12:13]
	v_fma_f64 v[38:39], v[38:39], 2.0, -v[40:41]
	ds_write2_b64 v116, v[36:37], v[38:39] offset1:40
	ds_write2_b64 v116, v[12:13], v[40:41] offset0:80 offset1:120
	v_mov_b32_e32 v12, 0x500
	v_cndmask_b32_e64 v12, 0, v12, s[0:1]
	v_add_u32_e32 v12, 0, v12
	v_lshlrev_b32_e32 v13, 3, v99
	v_add3_u32 v30, v12, v13, v95
	v_add_f64 v[12:13], v[34:35], -v[54:55]
	v_add_f64 v[54:55], v[70:71], -v[50:51]
	v_fma_f64 v[34:35], v[34:35], 2.0, -v[12:13]
	v_add_f64 v[56:57], v[72:73], -v[56:57]
	v_fma_f64 v[36:37], v[70:71], 2.0, -v[54:55]
	v_add_f64 v[36:37], v[34:35], -v[36:37]
	v_add_f64 v[38:39], v[12:13], -v[56:57]
	v_fma_f64 v[34:35], v[34:35], 2.0, -v[36:37]
	v_fma_f64 v[12:13], v[12:13], 2.0, -v[38:39]
	v_add_f64 v[14:15], v[28:29], -v[14:15]
	v_add_f64 v[80:81], v[8:9], -v[6:7]
	ds_write2_b64 v30, v[34:35], v[12:13] offset1:40
	ds_write2_b64 v30, v[36:37], v[38:39] offset0:80 offset1:120
	v_add_f64 v[12:13], v[32:33], -v[16:17]
	v_add_f64 v[70:71], v[44:45], -v[4:5]
	v_fma_f64 v[28:29], v[28:29], 2.0, -v[14:15]
	v_fma_f64 v[6:7], v[8:9], 2.0, -v[80:81]
	;; [unrolled: 1-line block ×4, first 2 shown]
	v_add_f64 v[6:7], v[28:29], -v[6:7]
	v_add_f64 v[4:5], v[16:17], -v[4:5]
	v_fma_f64 v[8:9], v[28:29], 2.0, -v[6:7]
	v_add_f64 v[28:29], v[74:75], -v[0:1]
	v_add_f64 v[82:83], v[78:79], -v[2:3]
	v_fma_f64 v[16:17], v[16:17], 2.0, -v[4:5]
	v_add_f64 v[0:1], v[12:13], -v[28:29]
	v_add_f64 v[2:3], v[14:15], -v[82:83]
	ds_write2_b64 v112, v[16:17], v[8:9] offset0:168 offset1:184
	v_fma_f64 v[8:9], v[12:13], 2.0, -v[0:1]
	v_fma_f64 v[12:13], v[14:15], 2.0, -v[2:3]
	ds_write2_b64 v112, v[8:9], v[12:13] offset0:208 offset1:224
	v_add_f64 v[12:13], v[60:61], -v[146:147]
	v_fma_f64 v[8:9], v[46:47], 2.0, -v[18:19]
	v_fma_f64 v[14:15], v[60:61], 2.0, -v[12:13]
	v_add_f64 v[60:61], v[14:15], -v[8:9]
	v_add_f64 v[110:111], v[12:13], v[10:11]
	v_add_u32_e32 v95, 0x400, v112
	v_fma_f64 v[84:85], v[14:15], 2.0, -v[60:61]
	v_fma_f64 v[122:123], v[12:13], 2.0, -v[110:111]
	ds_write2_b64 v95, v[4:5], v[6:7] offset0:120 offset1:136
	ds_write2_b64 v93, v[0:1], v[2:3] offset0:32 offset1:48
	s_waitcnt lgkmcnt(0)
	; wave barrier
	s_waitcnt lgkmcnt(0)
	ds_read_b64 v[32:33], v113
	ds_read_b64 v[36:37], v89
	;; [unrolled: 1-line block ×10, first 2 shown]
	ds_read2_b64 v[0:3], v112 offset0:160 offset1:176
	ds_read2_b64 v[4:7], v112 offset0:192 offset1:208
	;; [unrolled: 1-line block ×3, first 2 shown]
	ds_read2_b64 v[12:15], v93 offset1:16
	ds_read2_b64 v[16:19], v93 offset0:32 offset1:48
	v_add_f64 v[22:23], v[58:59], -v[22:23]
	v_fma_f64 v[52:53], v[64:65], 2.0, -v[52:53]
	v_fma_f64 v[58:59], v[58:59], 2.0, -v[22:23]
	s_waitcnt lgkmcnt(0)
	; wave barrier
	s_waitcnt lgkmcnt(0)
	ds_write2_b64 v112, v[84:85], v[122:123] offset1:40
	ds_write2_b64 v112, v[60:61], v[110:111] offset0:80 offset1:120
	v_add_f64 v[52:53], v[58:59], -v[52:53]
	v_add_f64 v[60:61], v[22:23], v[62:63]
	v_fma_f64 v[58:59], v[58:59], 2.0, -v[52:53]
	v_fma_f64 v[22:23], v[22:23], 2.0, -v[60:61]
	v_add_f64 v[26:27], v[68:69], -v[26:27]
	ds_write2_b64 v116, v[58:59], v[22:23] offset1:40
	ds_write2_b64 v116, v[52:53], v[60:61] offset0:80 offset1:120
	v_fma_f64 v[22:23], v[72:73], 2.0, -v[56:57]
	v_fma_f64 v[52:53], v[68:69], 2.0, -v[26:27]
	v_add_f64 v[22:23], v[52:53], -v[22:23]
	v_add_f64 v[54:55], v[26:27], v[54:55]
	v_fma_f64 v[52:53], v[52:53], 2.0, -v[22:23]
	v_fma_f64 v[26:27], v[26:27], 2.0, -v[54:55]
	v_add_f64 v[20:21], v[66:67], -v[20:21]
	v_add_f64 v[24:25], v[76:77], -v[24:25]
	ds_write2_b64 v30, v[52:53], v[26:27] offset1:40
	ds_write2_b64 v30, v[22:23], v[54:55] offset0:80 offset1:120
	v_fma_f64 v[22:23], v[74:75], 2.0, -v[28:29]
	v_fma_f64 v[26:27], v[78:79], 2.0, -v[82:83]
	;; [unrolled: 1-line block ×4, first 2 shown]
	v_add_f64 v[22:23], v[28:29], -v[22:23]
	v_add_f64 v[26:27], v[54:55], -v[26:27]
	v_fma_f64 v[28:29], v[28:29], 2.0, -v[22:23]
	v_add_f64 v[52:53], v[20:21], v[70:71]
	v_fma_f64 v[54:55], v[54:55], 2.0, -v[26:27]
	v_add_f64 v[56:57], v[24:25], v[80:81]
	v_fma_f64 v[20:21], v[20:21], 2.0, -v[52:53]
	v_fma_f64 v[24:25], v[24:25], 2.0, -v[56:57]
	ds_write2_b64 v112, v[28:29], v[54:55] offset0:168 offset1:184
	ds_write2_b64 v112, v[20:21], v[24:25] offset0:208 offset1:224
	;; [unrolled: 1-line block ×4, first 2 shown]
	s_waitcnt lgkmcnt(0)
	; wave barrier
	s_waitcnt lgkmcnt(0)
	s_and_saveexec_b64 s[0:1], vcc
	s_cbranch_execz .LBB0_15
; %bb.14:
	v_mov_b32_e32 v109, v31
	v_lshl_add_u64 v[28:29], v[108:109], 4, s[8:9]
	v_mov_b32_e32 v107, v31
	v_mov_b32_e32 v105, v31
	v_lshl_add_u64 v[52:53], v[106:107], 4, s[8:9]
	global_load_dwordx4 v[24:27], v[28:29], off offset:2400
	global_load_dwordx4 v[20:23], v[52:53], off offset:2400
	v_lshl_add_u64 v[28:29], v[104:105], 4, s[8:9]
	v_mov_b32_e32 v103, v31
	v_mov_b32_e32 v101, v31
	v_lshl_add_u64 v[60:61], v[102:103], 4, s[8:9]
	global_load_dwordx4 v[52:55], v[28:29], off offset:2400
	global_load_dwordx4 v[56:59], v[60:61], off offset:2400
	v_lshl_add_u64 v[28:29], v[100:101], 4, s[8:9]
	global_load_dwordx4 v[60:63], v[28:29], off offset:2400
	v_mov_b32_e32 v99, v31
	v_lshl_add_u64 v[28:29], v[98:99], 4, s[8:9]
	global_load_dwordx4 v[64:67], v[28:29], off offset:2400
	v_mov_b32_e32 v97, v31
	v_lshl_add_u64 v[28:29], v[96:97], 4, s[8:9]
	v_mov_b32_e32 v95, v31
	global_load_dwordx4 v[68:71], v[28:29], off offset:2400
	v_lshl_add_u64 v[28:29], v[94:95], 4, s[8:9]
	global_load_dwordx4 v[72:75], v[28:29], off offset:2400
	ds_read2_b64 v[76:79], v93 offset0:32 offset1:48
	ds_read2_b64 v[80:83], v93 offset1:16
	ds_read2_b64 v[94:97], v112 offset0:224 offset1:240
	v_mov_b32_e32 v93, v31
	v_lshl_add_u64 v[28:29], v[92:93], 4, s[8:9]
	v_mul_lo_u32 v30, s3, v90
	v_mul_lo_u32 v124, s2, v91
	v_mad_u64_u32 v[84:85], s[0:1], s2, v90, 0
	global_load_dwordx4 v[90:93], v[28:29], off offset:2400
	ds_read_b64 v[102:103], v121
	ds_read_b64 v[104:105], v120
	;; [unrolled: 1-line block ×6, first 2 shown]
	v_mov_b32_e32 v89, v31
	v_lshl_add_u64 v[28:29], v[88:89], 4, s[8:9]
	global_load_dwordx4 v[98:101], v[28:29], off offset:2400
	v_add3_u32 v85, v85, v124, v30
	ds_read_b64 v[120:121], v115
	ds_read_b64 v[116:117], v116
	;; [unrolled: 1-line block ×4, first 2 shown]
	s_mov_b32 s0, 0xcccccccd
	s_movk_i32 s1, 0xa0
	s_waitcnt vmcnt(9) lgkmcnt(12)
	v_mul_f64 v[28:29], v[24:25], v[78:79]
	v_mul_f64 v[78:79], v[26:27], v[78:79]
	s_waitcnt vmcnt(8)
	v_mul_f64 v[124:125], v[16:17], v[22:23]
	v_mul_f64 v[22:23], v[76:77], v[22:23]
	v_fmac_f64_e32 v[28:29], v[18:19], v[26:27]
	s_waitcnt vmcnt(7)
	v_mul_f64 v[126:127], v[14:15], v[54:55]
	s_waitcnt lgkmcnt(11)
	v_mul_f64 v[54:55], v[82:83], v[54:55]
	s_waitcnt vmcnt(6)
	v_mul_f64 v[128:129], v[12:13], v[58:59]
	v_mul_f64 v[58:59], v[80:81], v[58:59]
	s_waitcnt vmcnt(5)
	v_mul_f64 v[130:131], v[10:11], v[62:63]
	s_waitcnt lgkmcnt(10)
	v_mul_f64 v[62:63], v[96:97], v[62:63]
	v_fma_f64 v[18:19], v[18:19], v[24:25], -v[78:79]
	v_fma_f64 v[16:17], v[16:17], v[20:21], -v[22:23]
	;; [unrolled: 1-line block ×3, first 2 shown]
	v_fmac_f64_e32 v[128:129], v[80:81], v[56:57]
	v_fma_f64 v[22:23], v[12:13], v[56:57], -v[58:59]
	v_fma_f64 v[56:57], v[10:11], v[60:61], -v[62:63]
	v_add_f64 v[10:11], v[50:51], -v[18:19]
	v_add_f64 v[26:27], v[46:47], -v[14:15]
	v_fma_f64 v[14:15], v[50:51], 2.0, -v[10:11]
	s_waitcnt vmcnt(4)
	v_mul_f64 v[50:51], v[8:9], v[66:67]
	v_fmac_f64_e32 v[50:51], v[94:95], v[64:65]
	v_fmac_f64_e32 v[130:131], v[96:97], v[60:61]
	s_waitcnt lgkmcnt(8)
	v_add_f64 v[78:79], v[104:105], -v[50:51]
	v_mul_f64 v[50:51], v[94:95], v[66:67]
	ds_read2_b64 v[94:97], v112 offset0:192 offset1:208
	v_fma_f64 v[8:9], v[8:9], v[64:65], -v[50:51]
	v_fmac_f64_e32 v[124:125], v[76:77], v[20:21]
	v_add_f64 v[76:77], v[40:41], -v[8:9]
	s_waitcnt vmcnt(3)
	v_mul_f64 v[8:9], v[6:7], v[70:71]
	s_waitcnt lgkmcnt(0)
	v_mul_f64 v[50:51], v[96:97], v[70:71]
	v_fma_f64 v[6:7], v[6:7], v[68:69], -v[50:51]
	s_waitcnt vmcnt(2)
	v_mul_f64 v[50:51], v[4:5], v[74:75]
	v_fmac_f64_e32 v[50:51], v[94:95], v[72:73]
	v_fmac_f64_e32 v[8:9], v[96:97], v[68:69]
	v_add_f64 v[66:67], v[118:119], -v[50:51]
	v_mul_f64 v[50:51], v[94:95], v[74:75]
	ds_read2_b64 v[94:97], v112 offset0:160 offset1:176
	v_fma_f64 v[4:5], v[4:5], v[72:73], -v[50:51]
	v_add_f64 v[64:65], v[36:37], -v[4:5]
	s_waitcnt vmcnt(1)
	v_mul_f64 v[4:5], v[2:3], v[92:93]
	v_fma_f64 v[68:69], v[36:37], 2.0, -v[64:65]
	s_waitcnt lgkmcnt(0)
	v_mul_f64 v[50:51], v[96:97], v[92:93]
	v_fma_f64 v[2:3], v[2:3], v[90:91], -v[50:51]
	s_waitcnt vmcnt(0)
	v_mul_f64 v[50:51], v[0:1], v[100:101]
	v_fmac_f64_e32 v[50:51], v[94:95], v[98:99]
	v_add_f64 v[74:75], v[122:123], -v[50:51]
	v_mul_f64 v[50:51], v[94:95], v[100:101]
	v_fma_f64 v[0:1], v[0:1], v[98:99], -v[50:51]
	v_add_f64 v[72:73], v[32:33], -v[0:1]
	v_mul_hi_u32 v0, v88, s0
	v_lshrrev_b32_e32 v0, 7, v0
	v_mul_lo_u32 v0, v0, s1
	v_sub_u32_e32 v30, v88, v0
	v_lshl_add_u64 v[0:1], v[84:85], 4, s[6:7]
	v_lshl_add_u64 v[0:1], v[86:87], 4, v[0:1]
	v_lshlrev_b32_e32 v30, 4, v30
	v_fmac_f64_e32 v[4:5], v[96:97], v[90:91]
	v_fma_f64 v[92:93], v[122:123], 2.0, -v[74:75]
	v_fma_f64 v[90:91], v[32:33], 2.0, -v[72:73]
	v_lshl_add_u64 v[32:33], v[0:1], 0, v[30:31]
	v_add_u32_e32 v30, 16, v88
	global_store_dwordx4 v[32:33], v[90:93], off
	global_store_dwordx4 v[32:33], v[72:75], off offset:2560
	v_mul_hi_u32 v32, v30, s0
	v_lshrrev_b32_e32 v32, 7, v32
	v_mul_lo_u32 v33, v32, s1
	v_sub_u32_e32 v30, v30, v33
	v_mad_u64_u32 v[32:33], s[2:3], v32, s4, v[30:31]
	v_mov_b32_e32 v33, v31
	v_add_u32_e32 v30, 0xa0, v32
	v_add_f64 v[4:5], v[116:117], -v[4:5]
	v_add_f64 v[2:3], v[34:35], -v[2:3]
	v_lshl_add_u64 v[50:51], v[32:33], 4, v[0:1]
	v_lshl_add_u64 v[32:33], v[30:31], 4, v[0:1]
	v_fma_f64 v[34:35], v[34:35], 2.0, -v[2:3]
	global_store_dwordx4 v[32:33], v[2:5], off
	v_fma_f64 v[36:37], v[116:117], 2.0, -v[4:5]
	global_store_dwordx4 v[50:51], v[34:37], off
	v_add_u32_e32 v2, 32, v88
	v_mul_hi_u32 v3, v2, s0
	v_lshrrev_b32_e32 v3, 7, v3
	v_mul_lo_u32 v4, v3, s1
	v_sub_u32_e32 v2, v2, v4
	v_mad_u64_u32 v[2:3], s[2:3], v3, s4, v[2:3]
	v_mov_b32_e32 v3, v31
	v_add_u32_e32 v30, 0xa0, v2
	v_lshl_add_u64 v[4:5], v[2:3], 4, v[0:1]
	v_lshl_add_u64 v[2:3], v[30:31], 4, v[0:1]
	global_store_dwordx4 v[2:3], v[64:67], off
	v_add_u32_e32 v2, 48, v88
	v_mul_hi_u32 v3, v2, s0
	v_fma_f64 v[70:71], v[118:119], 2.0, -v[66:67]
	v_lshrrev_b32_e32 v3, 7, v3
	global_store_dwordx4 v[4:5], v[68:71], off
	v_mul_lo_u32 v4, v3, s1
	v_sub_u32_e32 v2, v2, v4
	v_mad_u64_u32 v[2:3], s[2:3], v3, s4, v[2:3]
	v_mov_b32_e32 v3, v31
	v_add_u32_e32 v30, 0xa0, v2
	v_add_f64 v[8:9], v[108:109], -v[8:9]
	v_add_f64 v[6:7], v[38:39], -v[6:7]
	v_lshl_add_u64 v[4:5], v[2:3], 4, v[0:1]
	v_lshl_add_u64 v[2:3], v[30:31], 4, v[0:1]
	global_store_dwordx4 v[2:3], v[6:9], off
	v_add_u32_e32 v2, 64, v88
	v_mul_hi_u32 v3, v2, s0
	v_fma_f64 v[80:81], v[40:41], 2.0, -v[76:77]
	v_fma_f64 v[40:41], v[108:109], 2.0, -v[8:9]
	;; [unrolled: 1-line block ×3, first 2 shown]
	v_lshrrev_b32_e32 v3, 7, v3
	global_store_dwordx4 v[4:5], v[38:41], off
	v_mul_lo_u32 v4, v3, s1
	v_sub_u32_e32 v2, v2, v4
	v_mad_u64_u32 v[2:3], s[2:3], v3, s4, v[2:3]
	v_mov_b32_e32 v3, v31
	v_add_u32_e32 v30, 0xa0, v2
	v_lshl_add_u64 v[4:5], v[2:3], 4, v[0:1]
	v_lshl_add_u64 v[2:3], v[30:31], 4, v[0:1]
	global_store_dwordx4 v[2:3], v[76:79], off
	v_add_u32_e32 v2, 0x50, v88
	v_mul_hi_u32 v3, v2, s0
	v_fmac_f64_e32 v[126:127], v[82:83], v[52:53]
	v_fma_f64 v[82:83], v[104:105], 2.0, -v[78:79]
	v_lshrrev_b32_e32 v3, 7, v3
	global_store_dwordx4 v[4:5], v[80:83], off
	v_mul_lo_u32 v4, v3, s1
	v_sub_u32_e32 v2, v2, v4
	v_mad_u64_u32 v[2:3], s[2:3], v3, s4, v[2:3]
	v_mov_b32_e32 v3, v31
	v_add_u32_e32 v30, 0xa0, v2
	v_add_f64 v[58:59], v[114:115], -v[130:131]
	v_add_f64 v[56:57], v[42:43], -v[56:57]
	v_lshl_add_u64 v[4:5], v[2:3], 4, v[0:1]
	v_lshl_add_u64 v[2:3], v[30:31], 4, v[0:1]
	global_store_dwordx4 v[2:3], v[56:59], off
	v_add_u32_e32 v2, 0x60, v88
	v_add_f64 v[52:53], v[44:45], -v[22:23]
	v_mul_hi_u32 v3, v2, s0
	v_fma_f64 v[60:61], v[44:45], 2.0, -v[52:53]
	v_fma_f64 v[44:45], v[114:115], 2.0, -v[58:59]
	;; [unrolled: 1-line block ×3, first 2 shown]
	v_lshrrev_b32_e32 v3, 7, v3
	global_store_dwordx4 v[4:5], v[42:45], off
	v_mul_lo_u32 v4, v3, s1
	v_sub_u32_e32 v2, v2, v4
	v_mad_u64_u32 v[2:3], s[2:3], v3, s4, v[2:3]
	v_mov_b32_e32 v3, v31
	v_add_u32_e32 v30, 0xa0, v2
	v_add_f64 v[54:55], v[120:121], -v[128:129]
	v_lshl_add_u64 v[4:5], v[2:3], 4, v[0:1]
	v_lshl_add_u64 v[2:3], v[30:31], 4, v[0:1]
	global_store_dwordx4 v[2:3], v[52:55], off
	v_add_u32_e32 v2, 0x70, v88
	v_mul_hi_u32 v3, v2, s0
	v_fma_f64 v[62:63], v[120:121], 2.0, -v[54:55]
	v_lshrrev_b32_e32 v3, 7, v3
	global_store_dwordx4 v[4:5], v[60:63], off
	v_mul_lo_u32 v4, v3, s1
	v_sub_u32_e32 v2, v2, v4
	v_mad_u64_u32 v[2:3], s[2:3], v3, s4, v[2:3]
	v_mov_b32_e32 v3, v31
	v_add_u32_e32 v30, 0xa0, v2
	v_add_f64 v[12:13], v[102:103], -v[28:29]
	v_add_f64 v[28:29], v[110:111], -v[126:127]
	v_lshl_add_u64 v[4:5], v[2:3], 4, v[0:1]
	v_lshl_add_u64 v[2:3], v[30:31], 4, v[0:1]
	global_store_dwordx4 v[2:3], v[26:29], off
	v_add_u32_e32 v2, 0x80, v88
	v_add_f64 v[18:19], v[48:49], -v[16:17]
	v_mul_hi_u32 v3, v2, s0
	v_fma_f64 v[22:23], v[48:49], 2.0, -v[18:19]
	v_fma_f64 v[48:49], v[110:111], 2.0, -v[28:29]
	;; [unrolled: 1-line block ×3, first 2 shown]
	v_lshrrev_b32_e32 v3, 7, v3
	global_store_dwordx4 v[4:5], v[46:49], off
	v_mul_lo_u32 v4, v3, s1
	v_sub_u32_e32 v2, v2, v4
	v_mad_u64_u32 v[2:3], s[2:3], v3, s4, v[2:3]
	v_mov_b32_e32 v3, v31
	v_add_u32_e32 v30, 0xa0, v2
	v_add_f64 v[20:21], v[106:107], -v[124:125]
	v_lshl_add_u64 v[4:5], v[2:3], 4, v[0:1]
	v_lshl_add_u64 v[2:3], v[30:31], 4, v[0:1]
	global_store_dwordx4 v[2:3], v[18:21], off
	v_add_u32_e32 v2, 0x90, v88
	v_mul_hi_u32 v3, v2, s0
	v_fma_f64 v[24:25], v[106:107], 2.0, -v[20:21]
	v_lshrrev_b32_e32 v3, 7, v3
	global_store_dwordx4 v[4:5], v[22:25], off
	v_mul_lo_u32 v4, v3, s1
	v_sub_u32_e32 v2, v2, v4
	v_mad_u64_u32 v[2:3], s[0:1], v3, s4, v[2:3]
	v_mov_b32_e32 v3, v31
	v_add_u32_e32 v30, 0xa0, v2
	v_fma_f64 v[16:17], v[102:103], 2.0, -v[12:13]
	v_lshl_add_u64 v[4:5], v[2:3], 4, v[0:1]
	v_lshl_add_u64 v[0:1], v[30:31], 4, v[0:1]
	global_store_dwordx4 v[4:5], v[14:17], off
	global_store_dwordx4 v[0:1], v[10:13], off
.LBB0_15:
	s_endpgm
	.section	.rodata,"a",@progbits
	.p2align	6, 0x0
	.amdhsa_kernel fft_rtc_fwd_len320_factors_10_4_4_2_wgs_64_tpt_16_halfLds_dp_op_CI_CI_unitstride_sbrr_dirReg
		.amdhsa_group_segment_fixed_size 0
		.amdhsa_private_segment_fixed_size 0
		.amdhsa_kernarg_size 104
		.amdhsa_user_sgpr_count 2
		.amdhsa_user_sgpr_dispatch_ptr 0
		.amdhsa_user_sgpr_queue_ptr 0
		.amdhsa_user_sgpr_kernarg_segment_ptr 1
		.amdhsa_user_sgpr_dispatch_id 0
		.amdhsa_user_sgpr_kernarg_preload_length 0
		.amdhsa_user_sgpr_kernarg_preload_offset 0
		.amdhsa_user_sgpr_private_segment_size 0
		.amdhsa_uses_dynamic_stack 0
		.amdhsa_enable_private_segment 0
		.amdhsa_system_sgpr_workgroup_id_x 1
		.amdhsa_system_sgpr_workgroup_id_y 0
		.amdhsa_system_sgpr_workgroup_id_z 0
		.amdhsa_system_sgpr_workgroup_info 0
		.amdhsa_system_vgpr_workitem_id 0
		.amdhsa_next_free_vgpr 150
		.amdhsa_next_free_sgpr 28
		.amdhsa_accum_offset 152
		.amdhsa_reserve_vcc 1
		.amdhsa_float_round_mode_32 0
		.amdhsa_float_round_mode_16_64 0
		.amdhsa_float_denorm_mode_32 3
		.amdhsa_float_denorm_mode_16_64 3
		.amdhsa_dx10_clamp 1
		.amdhsa_ieee_mode 1
		.amdhsa_fp16_overflow 0
		.amdhsa_tg_split 0
		.amdhsa_exception_fp_ieee_invalid_op 0
		.amdhsa_exception_fp_denorm_src 0
		.amdhsa_exception_fp_ieee_div_zero 0
		.amdhsa_exception_fp_ieee_overflow 0
		.amdhsa_exception_fp_ieee_underflow 0
		.amdhsa_exception_fp_ieee_inexact 0
		.amdhsa_exception_int_div_zero 0
	.end_amdhsa_kernel
	.text
.Lfunc_end0:
	.size	fft_rtc_fwd_len320_factors_10_4_4_2_wgs_64_tpt_16_halfLds_dp_op_CI_CI_unitstride_sbrr_dirReg, .Lfunc_end0-fft_rtc_fwd_len320_factors_10_4_4_2_wgs_64_tpt_16_halfLds_dp_op_CI_CI_unitstride_sbrr_dirReg
                                        ; -- End function
	.section	.AMDGPU.csdata,"",@progbits
; Kernel info:
; codeLenInByte = 9812
; NumSgprs: 34
; NumVgprs: 150
; NumAgprs: 0
; TotalNumVgprs: 150
; ScratchSize: 0
; MemoryBound: 1
; FloatMode: 240
; IeeeMode: 1
; LDSByteSize: 0 bytes/workgroup (compile time only)
; SGPRBlocks: 4
; VGPRBlocks: 18
; NumSGPRsForWavesPerEU: 34
; NumVGPRsForWavesPerEU: 150
; AccumOffset: 152
; Occupancy: 3
; WaveLimiterHint : 1
; COMPUTE_PGM_RSRC2:SCRATCH_EN: 0
; COMPUTE_PGM_RSRC2:USER_SGPR: 2
; COMPUTE_PGM_RSRC2:TRAP_HANDLER: 0
; COMPUTE_PGM_RSRC2:TGID_X_EN: 1
; COMPUTE_PGM_RSRC2:TGID_Y_EN: 0
; COMPUTE_PGM_RSRC2:TGID_Z_EN: 0
; COMPUTE_PGM_RSRC2:TIDIG_COMP_CNT: 0
; COMPUTE_PGM_RSRC3_GFX90A:ACCUM_OFFSET: 37
; COMPUTE_PGM_RSRC3_GFX90A:TG_SPLIT: 0
	.text
	.p2alignl 6, 3212836864
	.fill 256, 4, 3212836864
	.type	__hip_cuid_71195fd02e5138e5,@object ; @__hip_cuid_71195fd02e5138e5
	.section	.bss,"aw",@nobits
	.globl	__hip_cuid_71195fd02e5138e5
__hip_cuid_71195fd02e5138e5:
	.byte	0                               ; 0x0
	.size	__hip_cuid_71195fd02e5138e5, 1

	.ident	"AMD clang version 19.0.0git (https://github.com/RadeonOpenCompute/llvm-project roc-6.4.0 25133 c7fe45cf4b819c5991fe208aaa96edf142730f1d)"
	.section	".note.GNU-stack","",@progbits
	.addrsig
	.addrsig_sym __hip_cuid_71195fd02e5138e5
	.amdgpu_metadata
---
amdhsa.kernels:
  - .agpr_count:     0
    .args:
      - .actual_access:  read_only
        .address_space:  global
        .offset:         0
        .size:           8
        .value_kind:     global_buffer
      - .offset:         8
        .size:           8
        .value_kind:     by_value
      - .actual_access:  read_only
        .address_space:  global
        .offset:         16
        .size:           8
        .value_kind:     global_buffer
      - .actual_access:  read_only
        .address_space:  global
        .offset:         24
        .size:           8
        .value_kind:     global_buffer
      - .actual_access:  read_only
        .address_space:  global
        .offset:         32
        .size:           8
        .value_kind:     global_buffer
      - .offset:         40
        .size:           8
        .value_kind:     by_value
      - .actual_access:  read_only
        .address_space:  global
        .offset:         48
        .size:           8
        .value_kind:     global_buffer
      - .actual_access:  read_only
        .address_space:  global
        .offset:         56
        .size:           8
        .value_kind:     global_buffer
      - .offset:         64
        .size:           4
        .value_kind:     by_value
      - .actual_access:  read_only
        .address_space:  global
        .offset:         72
        .size:           8
        .value_kind:     global_buffer
      - .actual_access:  read_only
        .address_space:  global
        .offset:         80
        .size:           8
        .value_kind:     global_buffer
      - .actual_access:  read_only
        .address_space:  global
        .offset:         88
        .size:           8
        .value_kind:     global_buffer
      - .actual_access:  write_only
        .address_space:  global
        .offset:         96
        .size:           8
        .value_kind:     global_buffer
    .group_segment_fixed_size: 0
    .kernarg_segment_align: 8
    .kernarg_segment_size: 104
    .language:       OpenCL C
    .language_version:
      - 2
      - 0
    .max_flat_workgroup_size: 64
    .name:           fft_rtc_fwd_len320_factors_10_4_4_2_wgs_64_tpt_16_halfLds_dp_op_CI_CI_unitstride_sbrr_dirReg
    .private_segment_fixed_size: 0
    .sgpr_count:     34
    .sgpr_spill_count: 0
    .symbol:         fft_rtc_fwd_len320_factors_10_4_4_2_wgs_64_tpt_16_halfLds_dp_op_CI_CI_unitstride_sbrr_dirReg.kd
    .uniform_work_group_size: 1
    .uses_dynamic_stack: false
    .vgpr_count:     150
    .vgpr_spill_count: 0
    .wavefront_size: 64
amdhsa.target:   amdgcn-amd-amdhsa--gfx950
amdhsa.version:
  - 1
  - 2
...

	.end_amdgpu_metadata
